;; amdgpu-corpus repo=ROCm/rocFFT kind=compiled arch=gfx1201 opt=O3
	.text
	.amdgcn_target "amdgcn-amd-amdhsa--gfx1201"
	.amdhsa_code_object_version 6
	.protected	bluestein_single_fwd_len1020_dim1_dp_op_CI_CI ; -- Begin function bluestein_single_fwd_len1020_dim1_dp_op_CI_CI
	.globl	bluestein_single_fwd_len1020_dim1_dp_op_CI_CI
	.p2align	8
	.type	bluestein_single_fwd_len1020_dim1_dp_op_CI_CI,@function
bluestein_single_fwd_len1020_dim1_dp_op_CI_CI: ; @bluestein_single_fwd_len1020_dim1_dp_op_CI_CI
; %bb.0:
	s_load_b128 s[8:11], s[0:1], 0x28
	v_mul_u32_u24_e32 v1, 0x3c4, v0
	s_mov_b32 s2, exec_lo
	s_delay_alu instid0(VALU_DEP_1) | instskip(NEXT) | instid1(VALU_DEP_1)
	v_lshrrev_b32_e32 v1, 16, v1
	v_mad_co_u64_u32 v[52:53], null, ttmp9, 3, v[1:2]
	v_mov_b32_e32 v53, 0
	s_wait_kmcnt 0x0
	s_delay_alu instid0(VALU_DEP_1)
	v_cmpx_gt_u64_e64 s[8:9], v[52:53]
	s_cbranch_execz .LBB0_31
; %bb.1:
	s_clause 0x1
	s_load_b128 s[4:7], s[0:1], 0x18
	s_load_b64 s[16:17], s[0:1], 0x0
	v_mul_lo_u16 v1, 0x44, v1
	s_movk_i32 s2, 0xfe46
	s_mov_b32 s3, -1
	v_mul_hi_u32 v51, 0xaaaaaaab, v52
	s_delay_alu instid0(VALU_DEP_2) | instskip(NEXT) | instid1(VALU_DEP_1)
	v_sub_nc_u16 v2, v0, v1
	v_and_b32_e32 v55, 0xffff, v2
	s_delay_alu instid0(VALU_DEP_3) | instskip(NEXT) | instid1(VALU_DEP_1)
	v_lshrrev_b32_e32 v51, 1, v51
	v_lshl_add_u32 v51, v51, 1, v51
	s_wait_kmcnt 0x0
	s_load_b128 s[12:15], s[4:5], 0x0
	s_delay_alu instid0(VALU_DEP_1) | instskip(NEXT) | instid1(VALU_DEP_1)
	v_sub_nc_u32_e32 v51, v52, v51
	v_mul_u32_u24_e32 v51, 0x3fc, v51
	s_wait_kmcnt 0x0
	v_mad_co_u64_u32 v[0:1], null, s14, v52, 0
	v_mad_co_u64_u32 v[3:4], null, s12, v55, 0
	s_mul_u64 s[4:5], s[12:13], 0x1fe
	s_mul_u64 s[2:3], s[12:13], s[2:3]
	s_delay_alu instid0(SALU_CYCLE_1) | instskip(NEXT) | instid1(VALU_DEP_2)
	s_lshl_b64 s[2:3], s[2:3], 4
	v_mad_co_u64_u32 v[5:6], null, s15, v52, v[1:2]
	s_delay_alu instid0(VALU_DEP_1) | instskip(SKIP_1) | instid1(VALU_DEP_1)
	v_mad_co_u64_u32 v[6:7], null, s13, v55, v[4:5]
	v_mov_b32_e32 v1, v5
	v_lshlrev_b64_e32 v[0:1], 4, v[0:1]
	s_delay_alu instid0(VALU_DEP_3) | instskip(SKIP_1) | instid1(VALU_DEP_2)
	v_mov_b32_e32 v4, v6
	v_lshlrev_b32_e32 v244, 4, v55
	v_lshlrev_b64_e32 v[3:4], 4, v[3:4]
	s_clause 0xa
	global_load_b128 v[118:121], v244, s[16:17] offset:8160
	global_load_b128 v[122:125], v244, s[16:17]
	global_load_b128 v[126:129], v244, s[16:17] offset:1088
	global_load_b128 v[130:133], v244, s[16:17] offset:9248
	global_load_b128 v[134:137], v244, s[16:17] offset:10336
	global_load_b128 v[138:141], v244, s[16:17] offset:2176
	global_load_b128 v[142:145], v244, s[16:17] offset:3264
	global_load_b128 v[146:149], v244, s[16:17] offset:11424
	global_load_b128 v[150:153], v244, s[16:17] offset:12512
	global_load_b128 v[154:157], v244, s[16:17] offset:4352
	global_load_b128 v[158:161], v244, s[16:17] offset:5440
	v_add_co_u32 v0, vcc_lo, s10, v0
	v_add_co_ci_u32_e32 v1, vcc_lo, s11, v1, vcc_lo
	s_lshl_b64 s[10:11], s[4:5], 4
	s_delay_alu instid0(VALU_DEP_2) | instskip(SKIP_1) | instid1(VALU_DEP_2)
	v_add_co_u32 v0, vcc_lo, v0, v3
	s_wait_alu 0xfffd
	v_add_co_ci_u32_e32 v1, vcc_lo, v1, v4, vcc_lo
	global_load_b128 v[162:165], v244, s[16:17] offset:13600
	s_wait_alu 0xfffe
	v_add_co_u32 v7, vcc_lo, v0, s10
	s_wait_alu 0xfffd
	v_add_co_ci_u32_e32 v8, vcc_lo, s11, v1, vcc_lo
	s_delay_alu instid0(VALU_DEP_2) | instskip(SKIP_1) | instid1(VALU_DEP_2)
	v_add_co_u32 v11, vcc_lo, v7, s2
	s_wait_alu 0xfffd
	v_add_co_ci_u32_e32 v12, vcc_lo, s3, v8, vcc_lo
	s_clause 0x1
	global_load_b128 v[3:6], v[0:1], off
	global_load_b128 v[7:10], v[7:8], off
	v_add_co_u32 v15, vcc_lo, v11, s10
	s_wait_alu 0xfffd
	v_add_co_ci_u32_e32 v16, vcc_lo, s11, v12, vcc_lo
	s_delay_alu instid0(VALU_DEP_2) | instskip(SKIP_1) | instid1(VALU_DEP_2)
	v_add_co_u32 v19, vcc_lo, v15, s2
	s_wait_alu 0xfffd
	v_add_co_ci_u32_e32 v20, vcc_lo, s3, v16, vcc_lo
	s_clause 0x1
	global_load_b128 v[11:14], v[11:12], off
	global_load_b128 v[15:18], v[15:16], off
	v_add_co_u32 v0, vcc_lo, v19, s10
	s_wait_alu 0xfffd
	v_add_co_ci_u32_e32 v1, vcc_lo, s11, v20, vcc_lo
	global_load_b128 v[19:22], v[19:20], off
	v_add_co_u32 v27, vcc_lo, v0, s2
	s_wait_alu 0xfffd
	v_add_co_ci_u32_e32 v28, vcc_lo, s3, v1, vcc_lo
	;; [unrolled: 4-line block ×8, first 2 shown]
	s_delay_alu instid0(VALU_DEP_2) | instskip(SKIP_1) | instid1(VALU_DEP_2)
	v_add_co_u32 v0, vcc_lo, v53, s10
	s_wait_alu 0xfffd
	v_add_co_ci_u32_e32 v1, vcc_lo, s11, v54, vcc_lo
	global_load_b128 v[47:50], v[47:48], off
	global_load_b128 v[166:169], v244, s[16:17] offset:6528
	global_load_b128 v[56:59], v[53:54], off
	global_load_b128 v[170:173], v244, s[16:17] offset:14688
	global_load_b128 v[60:63], v[0:1], off
	v_cmp_gt_u16_e32 vcc_lo, 34, v2
	s_wait_loadcnt 0x18
	s_clause 0x3
	scratch_store_b128 off, v[130:133], off offset:56
	scratch_store_b128 off, v[122:125], off offset:24
	;; [unrolled: 1-line block ×4, first 2 shown]
	s_wait_loadcnt 0x16
	s_clause 0x1
	scratch_store_b128 off, v[138:141], off offset:88
	scratch_store_b128 off, v[134:137], off offset:72
	s_wait_loadcnt 0x15
	scratch_store_b128 off, v[142:145], off offset:104 ; 16-byte Folded Spill
	s_wait_loadcnt 0x14
	scratch_store_b128 off, v[146:149], off offset:120 ; 16-byte Folded Spill
	s_wait_loadcnt 0x12
	s_clause 0x1
	scratch_store_b128 off, v[154:157], off offset:152
	scratch_store_b128 off, v[150:153], off offset:136
	s_wait_loadcnt 0x11
	scratch_store_b128 off, v[158:161], off offset:168 ; 16-byte Folded Spill
	s_wait_loadcnt 0x10
	scratch_store_b128 off, v[162:165], off offset:184 ; 16-byte Folded Spill
	s_wait_loadcnt 0xf
	v_mul_f64_e32 v[53:54], v[5:6], v[124:125]
	v_mul_f64_e32 v[64:65], v[3:4], v[124:125]
	s_wait_loadcnt 0xe
	v_mul_f64_e32 v[66:67], v[9:10], v[120:121]
	v_mul_f64_e32 v[68:69], v[7:8], v[120:121]
	;; [unrolled: 3-line block ×5, first 2 shown]
	v_lshlrev_b32_e32 v140, 4, v51
	v_add_co_u32 v51, s12, s16, v244
	s_wait_loadcnt 0xa
	v_mul_f64_e32 v[82:83], v[25:26], v[136:137]
	v_mul_f64_e32 v[84:85], v[23:24], v[136:137]
	s_wait_loadcnt 0x9
	v_mul_f64_e32 v[86:87], v[29:30], v[144:145]
	v_mul_f64_e32 v[88:89], v[27:28], v[144:145]
	;; [unrolled: 3-line block ×4, first 2 shown]
	v_fma_f64 v[3:4], v[3:4], v[122:123], v[53:54]
	v_fma_f64 v[5:6], v[5:6], v[122:123], -v[64:65]
	v_fma_f64 v[7:8], v[7:8], v[118:119], v[66:67]
	s_wait_loadcnt 0x6
	v_mul_f64_e32 v[98:99], v[41:42], v[152:153]
	v_mul_f64_e32 v[100:101], v[39:40], v[152:153]
	v_fma_f64 v[9:10], v[9:10], v[118:119], -v[68:69]
	v_mov_b32_e32 v53, v52
	s_wait_alu 0xf1ff
	v_add_co_ci_u32_e64 v52, null, s17, 0, s12
	s_wait_loadcnt 0x5
	v_mul_f64_e32 v[102:103], v[45:46], v[160:161]
	v_mul_f64_e32 v[104:105], v[43:44], v[160:161]
	v_fma_f64 v[11:12], v[11:12], v[126:127], v[70:71]
	v_fma_f64 v[13:14], v[13:14], v[126:127], -v[72:73]
	v_fma_f64 v[15:16], v[15:16], v[130:131], v[74:75]
	s_wait_loadcnt 0x4
	v_mul_f64_e32 v[106:107], v[49:50], v[164:165]
	v_mul_f64_e32 v[108:109], v[47:48], v[164:165]
	s_wait_loadcnt 0x2
	v_mul_f64_e32 v[110:111], v[58:59], v[168:169]
	v_mul_f64_e32 v[112:113], v[56:57], v[168:169]
	;; [unrolled: 3-line block ×3, first 2 shown]
	v_fma_f64 v[17:18], v[17:18], v[130:131], -v[76:77]
	v_fma_f64 v[23:24], v[23:24], v[134:135], v[82:83]
	v_fma_f64 v[25:26], v[25:26], v[134:135], -v[84:85]
	v_fma_f64 v[19:20], v[19:20], v[138:139], v[78:79]
	v_fma_f64 v[21:22], v[21:22], v[138:139], -v[80:81]
	s_clause 0x1
	scratch_store_b128 off, v[166:169], off offset:200
	scratch_store_b128 off, v[170:173], off offset:216
	v_fma_f64 v[27:28], v[27:28], v[142:143], v[86:87]
	v_fma_f64 v[29:30], v[29:30], v[142:143], -v[88:89]
	scratch_store_b64 off, v[53:54], off offset:232 ; 8-byte Folded Spill
	s_load_b64 s[8:9], s[0:1], 0x38
	s_load_b128 s[4:7], s[6:7], 0x0
	v_fma_f64 v[31:32], v[31:32], v[146:147], v[90:91]
	v_fma_f64 v[33:34], v[33:34], v[146:147], -v[92:93]
	v_add_nc_u32_e32 v53, v244, v140
	scratch_store_b64 off, v[51:52], off    ; 8-byte Folded Spill
	v_fma_f64 v[35:36], v[35:36], v[154:155], v[94:95]
	v_fma_f64 v[37:38], v[37:38], v[154:155], -v[96:97]
	v_fma_f64 v[39:40], v[39:40], v[150:151], v[98:99]
	v_fma_f64 v[41:42], v[41:42], v[150:151], -v[100:101]
	;; [unrolled: 2-line block ×3, first 2 shown]
	ds_store_b128 v53, v[3:6]
	ds_store_b128 v53, v[11:14] offset:1088
	ds_store_b128 v53, v[15:18] offset:9248
	;; [unrolled: 1-line block ×9, first 2 shown]
	v_fma_f64 v[56:57], v[56:57], v[166:167], v[110:111]
	v_fma_f64 v[58:59], v[58:59], v[166:167], -v[112:113]
	v_fma_f64 v[47:48], v[47:48], v[162:163], v[106:107]
	v_fma_f64 v[49:50], v[49:50], v[162:163], -v[108:109]
	;; [unrolled: 2-line block ×3, first 2 shown]
	ds_store_b128 v53, v[7:10] offset:8160
	ds_store_b128 v53, v[56:59] offset:6528
	;; [unrolled: 1-line block ×4, first 2 shown]
	s_and_saveexec_b32 s12, vcc_lo
	s_cbranch_execz .LBB0_3
; %bb.2:
	v_add_co_u32 v0, s2, v0, s2
	s_wait_alu 0xf1ff
	v_add_co_ci_u32_e64 v1, s2, s3, v1, s2
	s_delay_alu instid0(VALU_DEP_2) | instskip(SKIP_1) | instid1(VALU_DEP_2)
	v_add_co_u32 v12, s2, v0, s10
	s_wait_alu 0xf1ff
	v_add_co_ci_u32_e64 v13, s2, s11, v1, s2
	global_load_b128 v[0:3], v[0:1], off
	scratch_load_b64 v[8:9], off, off       ; 8-byte Folded Reload
	s_wait_loadcnt 0x0
	s_clause 0x1
	global_load_b128 v[4:7], v[8:9], off offset:7616
	global_load_b128 v[8:11], v[8:9], off offset:15776
	global_load_b128 v[12:15], v[12:13], off
	s_wait_loadcnt 0x2
	v_mul_f64_e32 v[16:17], v[2:3], v[6:7]
	v_mul_f64_e32 v[6:7], v[0:1], v[6:7]
	s_wait_loadcnt 0x0
	v_mul_f64_e32 v[18:19], v[14:15], v[10:11]
	v_mul_f64_e32 v[10:11], v[12:13], v[10:11]
	s_delay_alu instid0(VALU_DEP_4) | instskip(NEXT) | instid1(VALU_DEP_4)
	v_fma_f64 v[0:1], v[0:1], v[4:5], v[16:17]
	v_fma_f64 v[2:3], v[2:3], v[4:5], -v[6:7]
	s_delay_alu instid0(VALU_DEP_4) | instskip(NEXT) | instid1(VALU_DEP_4)
	v_fma_f64 v[4:5], v[12:13], v[8:9], v[18:19]
	v_fma_f64 v[6:7], v[14:15], v[8:9], -v[10:11]
	ds_store_b128 v53, v[0:3] offset:7616
	ds_store_b128 v53, v[4:7] offset:15776
.LBB0_3:
	s_wait_alu 0xfffe
	s_or_b32 exec_lo, exec_lo, s12
	global_wb scope:SCOPE_SE
	s_wait_storecnt_dscnt 0x0
	s_wait_kmcnt 0x0
	s_barrier_signal -1
	s_barrier_wait -1
	global_inv scope:SCOPE_SE
	ds_load_b128 v[4:7], v53
	ds_load_b128 v[8:11], v53 offset:1088
	ds_load_b128 v[64:67], v53 offset:9248
	;; [unrolled: 1-line block ×13, first 2 shown]
                                        ; implicit-def: $vgpr36_vgpr37
                                        ; implicit-def: $vgpr12_vgpr13
	s_and_saveexec_b32 s2, vcc_lo
	s_cbranch_execz .LBB0_5
; %bb.4:
	ds_load_b128 v[36:39], v53 offset:7616
	ds_load_b128 v[12:15], v53 offset:15776
.LBB0_5:
	s_wait_alu 0xfffe
	s_or_b32 exec_lo, exec_lo, s2
	s_wait_dscnt 0x3
	v_add_f64_e64 v[60:61], v[4:5], -v[60:61]
	v_add_f64_e64 v[62:63], v[6:7], -v[62:63]
	;; [unrolled: 1-line block ×10, first 2 shown]
	s_wait_dscnt 0x1
	v_add_f64_e64 v[120:121], v[24:25], -v[40:41]
	v_add_f64_e64 v[122:123], v[26:27], -v[42:43]
	s_wait_dscnt 0x0
	v_add_f64_e64 v[0:1], v[32:33], -v[0:1]
	v_add_f64_e64 v[2:3], v[34:35], -v[2:3]
	;; [unrolled: 1-line block ×4, first 2 shown]
	s_load_b64 s[2:3], s[0:1], 0x8
	v_add_co_u32 v40, s0, 0x44, v55
	s_wait_alu 0xf1ff
	v_add_co_ci_u32_e64 v41, null, 0, 0, s0
	v_add_co_u32 v245, null, 0x88, v55
	v_add_co_u32 v42, null, 0xcc, v55
	;; [unrolled: 1-line block ×3, first 2 shown]
	v_lshl_add_u32 v142, v55, 5, v140
	global_wb scope:SCOPE_SE
	s_wait_kmcnt 0x0
	s_barrier_signal -1
	s_barrier_wait -1
	global_inv scope:SCOPE_SE
	v_fma_f64 v[104:105], v[4:5], 2.0, -v[60:61]
	v_fma_f64 v[106:107], v[6:7], 2.0, -v[62:63]
	;; [unrolled: 1-line block ×16, first 2 shown]
	v_add_co_u32 v39, s0, 0x154, v55
	s_wait_alu 0xf1ff
	v_add_co_ci_u32_e64 v16, null, 0, 0, s0
	v_add_co_u32 v43, s0, 0x198, v55
	v_add_co_u32 v38, null, 0x1dc, v55
	s_wait_alu 0xf1ff
	v_add_co_ci_u32_e64 v16, null, 0, 0, s0
	v_lshl_add_u32 v16, v40, 5, v140
	v_lshl_add_u32 v17, v245, 5, v140
	;; [unrolled: 1-line block ×7, first 2 shown]
	scratch_store_b32 off, v22, off offset:564 ; 4-byte Folded Spill
	ds_store_b128 v142, v[104:107]
	ds_store_b128 v142, v[60:63] offset:16
	ds_store_b128 v16, v[4:7]
	scratch_store_b32 off, v16, off offset:256 ; 4-byte Folded Spill
	ds_store_b128 v16, v[64:67] offset:16
	ds_store_b128 v17, v[68:71]
	scratch_store_b32 off, v17, off offset:264 ; 4-byte Folded Spill
	;; [unrolled: 3-line block ×6, first 2 shown]
	ds_store_b128 v21, v[0:3] offset:16
	s_and_saveexec_b32 s0, vcc_lo
	s_cbranch_execz .LBB0_7
; %bb.6:
	v_lshl_add_u32 v16, v38, 5, v140
	ds_store_b128 v16, v[8:11]
	ds_store_b128 v16, v[12:15] offset:16
.LBB0_7:
	s_wait_alu 0xfffe
	s_or_b32 exec_lo, exec_lo, s0
	v_cmp_gt_u16_e64 s0, 60, v55
	global_wb scope:SCOPE_SE
	s_wait_storecnt_dscnt 0x0
	s_barrier_signal -1
	s_barrier_wait -1
	global_inv scope:SCOPE_SE
                                        ; implicit-def: $vgpr16_vgpr17
	s_and_saveexec_b32 s1, s0
	s_cbranch_execz .LBB0_9
; %bb.8:
	ds_load_b128 v[104:107], v53
	ds_load_b128 v[60:63], v53 offset:960
	ds_load_b128 v[4:7], v53 offset:1920
	;; [unrolled: 1-line block ×16, first 2 shown]
.LBB0_9:
	s_wait_alu 0xfffe
	s_or_b32 exec_lo, exec_lo, s1
	v_and_b32_e32 v20, 1, v55
	s_mov_b32 s20, 0x5d8e7cdc
	s_mov_b32 s21, 0xbfd71e95
	;; [unrolled: 1-line block ×4, first 2 shown]
	scratch_store_b32 off, v20, off offset:336 ; 4-byte Folded Spill
	v_lshlrev_b32_e32 v20, 8, v20
	s_mov_b32 s15, 0x3fedd6d0
	s_mov_b32 s13, 0xbfe58eea
	s_mov_b32 s10, 0x75d4884
	s_clause 0x1
	global_load_b128 v[26:29], v20, s[2:3]
	global_load_b128 v[84:87], v20, s[2:3] offset:16
	s_mov_b32 s11, 0x3fe7a5f6
	s_mov_b32 s28, 0x7c9e640b
	;; [unrolled: 1-line block ×36, first 2 shown]
	s_wait_alu 0xfffe
	s_mov_b32 s56, s12
	v_mov_b32_e32 v52, v55
	s_wait_loadcnt 0x1
	scratch_store_b128 off, v[26:29], off offset:240 ; 16-byte Folded Spill
	s_clause 0x1
	global_load_b128 v[112:115], v20, s[2:3] offset:240
	global_load_b128 v[96:99], v20, s[2:3] offset:224
	s_wait_dscnt 0xf
	v_mul_f64_e32 v[21:22], v[62:63], v[28:29]
	v_mul_f64_e32 v[24:25], v[60:61], v[28:29]
	s_delay_alu instid0(VALU_DEP_2) | instskip(NEXT) | instid1(VALU_DEP_2)
	v_fma_f64 v[22:23], v[60:61], v[26:27], -v[21:22]
	v_fma_f64 v[26:27], v[62:63], v[26:27], v[24:25]
	s_wait_loadcnt_dscnt 0x100
	v_mul_f64_e32 v[24:25], v[16:17], v[114:115]
	s_delay_alu instid0(VALU_DEP_1) | instskip(SKIP_1) | instid1(VALU_DEP_1)
	v_fma_f64 v[34:35], v[18:19], v[112:113], v[24:25]
	v_mul_f64_e32 v[18:19], v[18:19], v[114:115]
	v_fma_f64 v[44:45], v[16:17], v[112:113], -v[18:19]
	v_mul_f64_e32 v[16:17], v[6:7], v[86:87]
	s_delay_alu instid0(VALU_DEP_1) | instskip(SKIP_1) | instid1(VALU_DEP_1)
	v_fma_f64 v[50:51], v[4:5], v[84:85], -v[16:17]
	v_mul_f64_e32 v[4:5], v[4:5], v[86:87]
	v_fma_f64 v[58:59], v[6:7], v[84:85], v[4:5]
	s_wait_loadcnt 0x0
	v_mul_f64_e32 v[4:5], v[12:13], v[98:99]
	s_delay_alu instid0(VALU_DEP_1) | instskip(SKIP_1) | instid1(VALU_DEP_2)
	v_fma_f64 v[46:47], v[14:15], v[96:97], v[4:5]
	v_mul_f64_e32 v[4:5], v[14:15], v[98:99]
	v_add_f64_e64 v[204:205], v[58:59], -v[46:47]
	s_delay_alu instid0(VALU_DEP_2)
	v_fma_f64 v[48:49], v[12:13], v[96:97], -v[4:5]
	s_clause 0x1
	global_load_b128 v[16:19], v20, s[2:3] offset:32
	global_load_b128 v[12:15], v20, s[2:3] offset:48
	v_add_f64_e32 v[146:147], v[58:59], v[46:47]
	v_add_f64_e64 v[170:171], v[50:51], -v[48:49]
	s_delay_alu instid0(VALU_DEP_1)
	v_mul_f64_e32 v[242:243], s[26:27], v[170:171]
	v_mul_f64_e32 v[180:181], s[40:41], v[170:171]
	s_wait_loadcnt 0x1
	scratch_store_b128 off, v[16:19], off offset:476 ; 16-byte Folded Spill
	s_clause 0x1
	global_load_b128 v[80:83], v20, s[2:3] offset:208
	global_load_b128 v[72:75], v20, s[2:3] offset:192
	v_mul_f64_e32 v[4:5], v[66:67], v[18:19]
	s_wait_loadcnt 0x2
	scratch_store_b128 off, v[12:15], off offset:304 ; 16-byte Folded Spill
	v_fma_f64 v[60:61], v[64:65], v[16:17], -v[4:5]
	v_mul_f64_e32 v[4:5], v[64:65], v[18:19]
	s_delay_alu instid0(VALU_DEP_1) | instskip(SKIP_3) | instid1(VALU_DEP_1)
	v_fma_f64 v[62:63], v[66:67], v[16:17], v[4:5]
	v_mul_f64_e32 v[16:17], s[12:13], v[170:171]
	s_wait_loadcnt 0x1
	v_mul_f64_e32 v[4:5], v[10:11], v[82:83]
	v_fma_f64 v[88:89], v[8:9], v[80:81], -v[4:5]
	v_mul_f64_e32 v[4:5], v[8:9], v[82:83]
	s_delay_alu instid0(VALU_DEP_2) | instskip(NEXT) | instid1(VALU_DEP_2)
	v_add_f64_e32 v[150:151], v[60:61], v[88:89]
	v_fma_f64 v[90:91], v[10:11], v[80:81], v[4:5]
	v_mul_f64_e32 v[4:5], v[70:71], v[14:15]
	v_add_f64_e64 v[10:11], v[22:23], -v[44:45]
	v_add_f64_e64 v[172:173], v[60:61], -v[88:89]
	s_delay_alu instid0(VALU_DEP_4) | instskip(NEXT) | instid1(VALU_DEP_4)
	v_add_f64_e64 v[216:217], v[62:63], -v[90:91]
	v_fma_f64 v[238:239], v[68:69], v[12:13], -v[4:5]
	v_mul_f64_e32 v[4:5], v[68:69], v[14:15]
	v_add_f64_e32 v[166:167], v[62:63], v[90:91]
	v_mul_f64_e32 v[254:255], s[40:41], v[172:173]
	v_mul_f64_e32 v[202:203], s[44:45], v[172:173]
	;; [unrolled: 1-line block ×4, first 2 shown]
	v_fma_f64 v[18:19], v[70:71], v[12:13], v[4:5]
	s_wait_loadcnt 0x0
	v_mul_f64_e32 v[4:5], v[2:3], v[74:75]
	s_delay_alu instid0(VALU_DEP_1) | instskip(SKIP_1) | instid1(VALU_DEP_2)
	v_fma_f64 v[64:65], v[0:1], v[72:73], -v[4:5]
	v_mul_f64_e32 v[0:1], v[0:1], v[74:75]
	v_add_f64_e32 v[162:163], v[238:239], v[64:65]
	s_delay_alu instid0(VALU_DEP_2)
	v_fma_f64 v[66:67], v[2:3], v[72:73], v[0:1]
	s_clause 0x1
	global_load_b128 v[2:5], v20, s[2:3] offset:64
	global_load_b128 v[6:9], v20, s[2:3] offset:80
	v_add_f64_e64 v[182:183], v[238:239], -v[64:65]
	v_add_f64_e64 v[218:219], v[18:19], -v[66:67]
	v_add_f64_e32 v[174:175], v[18:19], v[66:67]
	s_delay_alu instid0(VALU_DEP_3) | instskip(NEXT) | instid1(VALU_DEP_3)
	v_mul_f64_e32 v[160:161], s[52:53], v[182:183]
	v_mul_f64_e32 v[246:247], s[52:53], v[218:219]
	;; [unrolled: 1-line block ×3, first 2 shown]
	s_wait_loadcnt 0x1
	scratch_store_b128 off, v[2:5], off offset:320 ; 16-byte Folded Spill
	s_clause 0x1
	global_load_b128 v[108:111], v20, s[2:3] offset:176
	global_load_b128 v[100:103], v20, s[2:3] offset:160
	v_mul_f64_e32 v[0:1], v[78:79], v[4:5]
	s_wait_loadcnt 0x2
	scratch_store_b128 off, v[6:9], off offset:460 ; 16-byte Folded Spill
	v_fma_f64 v[24:25], v[76:77], v[2:3], -v[0:1]
	v_mul_f64_e32 v[0:1], v[76:77], v[4:5]
	v_add_f64_e64 v[4:5], v[26:27], -v[34:35]
	s_delay_alu instid0(VALU_DEP_2)
	v_fma_f64 v[28:29], v[78:79], v[2:3], v[0:1]
	s_clause 0x1
	global_load_b128 v[76:79], v20, s[2:3] offset:96
	global_load_b128 v[68:71], v20, s[2:3] offset:112
	v_add_f64_e32 v[2:3], v[22:23], v[44:45]
	s_wait_loadcnt 0x3
	v_mul_f64_e32 v[0:1], v[138:139], v[110:111]
	s_delay_alu instid0(VALU_DEP_1) | instskip(SKIP_1) | instid1(VALU_DEP_2)
	v_fma_f64 v[30:31], v[136:137], v[108:109], -v[0:1]
	v_mul_f64_e32 v[0:1], v[136:137], v[110:111]
	v_add_f64_e32 v[178:179], v[24:25], v[30:31]
	s_delay_alu instid0(VALU_DEP_2) | instskip(SKIP_2) | instid1(VALU_DEP_3)
	v_fma_f64 v[136:137], v[138:139], v[108:109], v[0:1]
	v_mul_f64_e32 v[0:1], v[94:95], v[8:9]
	v_add_f64_e64 v[214:215], v[24:25], -v[30:31]
	v_add_f64_e64 v[228:229], v[28:29], -v[136:137]
	s_delay_alu instid0(VALU_DEP_3)
	v_fma_f64 v[138:139], v[92:93], v[6:7], -v[0:1]
	v_mul_f64_e32 v[0:1], v[92:93], v[8:9]
	v_mul_f64_e32 v[8:9], s[12:13], v[204:205]
	v_add_f64_e32 v[192:193], v[28:29], v[136:137]
	v_mul_f64_e32 v[168:169], s[42:43], v[214:215]
	v_mul_f64_e32 v[248:249], s[42:43], v[228:229]
	;; [unrolled: 1-line block ×3, first 2 shown]
	v_fma_f64 v[32:33], v[94:95], v[6:7], v[0:1]
	s_wait_loadcnt 0x2
	v_mul_f64_e32 v[0:1], v[122:123], v[102:103]
	s_delay_alu instid0(VALU_DEP_1) | instskip(SKIP_1) | instid1(VALU_DEP_2)
	v_fma_f64 v[92:93], v[120:121], v[100:101], -v[0:1]
	v_mul_f64_e32 v[0:1], v[120:121], v[102:103]
	v_add_f64_e32 v[188:189], v[138:139], v[92:93]
	s_delay_alu instid0(VALU_DEP_2) | instskip(SKIP_3) | instid1(VALU_DEP_3)
	v_fma_f64 v[94:95], v[122:123], v[100:101], v[0:1]
	s_wait_loadcnt 0x1
	v_mul_f64_e32 v[0:1], v[118:119], v[78:79]
	v_add_f64_e64 v[224:225], v[138:139], -v[92:93]
	v_add_f64_e64 v[232:233], v[32:33], -v[94:95]
	s_delay_alu instid0(VALU_DEP_3)
	v_fma_f64 v[36:37], v[116:117], v[76:77], -v[0:1]
	v_mul_f64_e32 v[0:1], v[116:117], v[78:79]
	v_add_f64_e32 v[196:197], v[32:33], v[94:95]
	v_mul_f64_e32 v[190:191], s[46:47], v[224:225]
	v_mul_f64_e32 v[250:251], s[46:47], v[232:233]
	;; [unrolled: 1-line block ×3, first 2 shown]
	v_fma_f64 v[56:57], v[118:119], v[76:77], v[0:1]
	s_clause 0x1
	global_load_b128 v[116:119], v20, s[2:3] offset:144
	global_load_b128 v[120:123], v20, s[2:3] offset:128
	s_clause 0x1
	scratch_store_b64 off, v[8:9], off offset:492
	scratch_store_b64 off, v[16:17], off offset:500
	v_fma_f64 v[16:17], v[146:147], s[10:11], -v[16:17]
	scratch_store_b64 off, v[18:19], off offset:340 ; 8-byte Folded Spill
	v_fma_f64 v[18:19], v[146:147], s[22:23], -v[242:243]
	s_wait_loadcnt 0x1
	v_mul_f64_e32 v[0:1], v[134:135], v[118:119]
	s_delay_alu instid0(VALU_DEP_1) | instskip(SKIP_1) | instid1(VALU_DEP_2)
	v_fma_f64 v[20:21], v[132:133], v[116:117], -v[0:1]
	v_mul_f64_e32 v[0:1], v[132:133], v[118:119]
	v_add_f64_e32 v[200:201], v[36:37], v[20:21]
	s_delay_alu instid0(VALU_DEP_2) | instskip(SKIP_2) | instid1(VALU_DEP_3)
	v_fma_f64 v[132:133], v[134:135], v[116:117], v[0:1]
	v_mul_f64_e32 v[0:1], v[130:131], v[70:71]
	v_add_f64_e64 v[226:227], v[36:37], -v[20:21]
	v_add_f64_e64 v[234:235], v[56:57], -v[132:133]
	s_delay_alu instid0(VALU_DEP_3)
	v_fma_f64 v[134:135], v[128:129], v[68:69], -v[0:1]
	v_mul_f64_e32 v[0:1], v[128:129], v[70:71]
	v_add_f64_e32 v[206:207], v[56:57], v[132:133]
	v_mul_f64_e32 v[194:195], s[50:51], v[226:227]
	v_mul_f64_e32 v[252:253], s[50:51], v[234:235]
	v_mul_f64_e32 v[198:199], s[26:27], v[234:235]
	v_fma_f64 v[130:131], v[130:131], v[68:69], v[0:1]
	s_wait_loadcnt 0x0
	v_mul_f64_e32 v[0:1], v[126:127], v[122:123]
	s_delay_alu instid0(VALU_DEP_1) | instskip(SKIP_1) | instid1(VALU_DEP_2)
	v_fma_f64 v[128:129], v[124:125], v[120:121], -v[0:1]
	v_mul_f64_e32 v[0:1], v[124:125], v[122:123]
	v_add_f64_e32 v[210:211], v[134:135], v[128:129]
	s_delay_alu instid0(VALU_DEP_2) | instskip(SKIP_3) | instid1(VALU_DEP_4)
	v_fma_f64 v[124:125], v[126:127], v[120:121], v[0:1]
	v_mul_f64_e32 v[0:1], s[20:21], v[4:5]
	v_add_f64_e32 v[126:127], v[50:51], v[48:49]
	v_add_f64_e64 v[230:231], v[134:135], -v[128:129]
	v_add_f64_e64 v[236:237], v[130:131], -v[124:125]
	s_delay_alu instid0(VALU_DEP_4) | instskip(NEXT) | instid1(VALU_DEP_4)
	v_fma_f64 v[6:7], v[2:3], s[14:15], v[0:1]
	v_fma_f64 v[8:9], v[126:127], s[10:11], v[8:9]
	v_add_f64_e32 v[220:221], v[130:131], v[124:125]
	v_mul_f64_e32 v[222:223], s[54:55], v[230:231]
	v_mul_f64_e32 v[144:145], s[54:55], v[236:237]
	v_add_f64_e32 v[6:7], v[104:105], v[6:7]
	v_mul_f64_e32 v[176:177], s[48:49], v[236:237]
	s_delay_alu instid0(VALU_DEP_2) | instskip(SKIP_2) | instid1(VALU_DEP_1)
	v_add_f64_e32 v[12:13], v[8:9], v[6:7]
	v_add_f64_e32 v[8:9], v[26:27], v[34:35]
	v_mul_f64_e32 v[6:7], s[20:21], v[10:11]
	v_fma_f64 v[14:15], v[8:9], s[14:15], -v[6:7]
	s_delay_alu instid0(VALU_DEP_1) | instskip(NEXT) | instid1(VALU_DEP_1)
	v_add_f64_e32 v[14:15], v[106:107], v[14:15]
	v_add_f64_e32 v[14:15], v[16:17], v[14:15]
	v_mul_f64_e32 v[16:17], s[28:29], v[216:217]
	scratch_store_b64 off, v[16:17], off offset:516 ; 8-byte Folded Spill
	v_fma_f64 v[16:17], v[150:151], s[18:19], v[16:17]
	s_delay_alu instid0(VALU_DEP_1) | instskip(SKIP_3) | instid1(VALU_DEP_1)
	v_add_f64_e32 v[12:13], v[16:17], v[12:13]
	v_mul_f64_e32 v[16:17], s[28:29], v[172:173]
	scratch_store_b64 off, v[16:17], off offset:548 ; 8-byte Folded Spill
	v_fma_f64 v[16:17], v[166:167], s[18:19], -v[16:17]
	v_add_f64_e32 v[14:15], v[16:17], v[14:15]
	v_mul_f64_e32 v[16:17], s[26:27], v[218:219]
	scratch_store_b64 off, v[16:17], off offset:532 ; 8-byte Folded Spill
	v_fma_f64 v[16:17], v[162:163], s[22:23], v[16:17]
	s_delay_alu instid0(VALU_DEP_1) | instskip(SKIP_3) | instid1(VALU_DEP_1)
	v_add_f64_e32 v[12:13], v[16:17], v[12:13]
	v_mul_f64_e32 v[16:17], s[26:27], v[182:183]
	scratch_store_b64 off, v[16:17], off offset:572 ; 8-byte Folded Spill
	v_fma_f64 v[16:17], v[174:175], s[22:23], -v[16:17]
	v_add_f64_e32 v[14:15], v[16:17], v[14:15]
	v_mul_f64_e32 v[16:17], s[34:35], v[228:229]
	scratch_store_b64 off, v[16:17], off offset:580 ; 8-byte Folded Spill
	v_fma_f64 v[16:17], v[178:179], s[24:25], v[16:17]
	s_clause 0x3
	scratch_store_b64 off, v[24:25], off offset:348
	scratch_store_b64 off, v[30:31], off offset:380
	;; [unrolled: 1-line block ×4, first 2 shown]
	v_mul_f64_e32 v[28:29], s[12:13], v[10:11]
	v_mul_f64_e32 v[30:31], s[28:29], v[4:5]
	;; [unrolled: 1-line block ×3, first 2 shown]
	v_add_f64_e32 v[12:13], v[16:17], v[12:13]
	v_mul_f64_e32 v[16:17], s[34:35], v[214:215]
	scratch_store_b64 off, v[16:17], off offset:596 ; 8-byte Folded Spill
	v_fma_f64 v[16:17], v[192:193], s[24:25], -v[16:17]
	s_delay_alu instid0(VALU_DEP_1) | instskip(SKIP_3) | instid1(VALU_DEP_1)
	v_add_f64_e32 v[14:15], v[16:17], v[14:15]
	v_mul_f64_e32 v[16:17], s[40:41], v[232:233]
	scratch_store_b64 off, v[16:17], off offset:588 ; 8-byte Folded Spill
	v_fma_f64 v[16:17], v[188:189], s[30:31], v[16:17]
	v_add_f64_e32 v[12:13], v[16:17], v[12:13]
	v_mul_f64_e32 v[16:17], s[40:41], v[224:225]
	scratch_store_b64 off, v[16:17], off offset:604 ; 8-byte Folded Spill
	v_fma_f64 v[16:17], v[196:197], s[30:31], -v[16:17]
	s_delay_alu instid0(VALU_DEP_1)
	v_add_f64_e32 v[14:15], v[16:17], v[14:15]
	v_mul_f64_e32 v[16:17], s[48:49], v[234:235]
	scratch_store_b64 off, v[16:17], off offset:612 ; 8-byte Folded Spill
	v_fma_f64 v[16:17], v[200:201], s[36:37], v[16:17]
	s_clause 0x1
	scratch_store_b64 off, v[36:37], off offset:412
	scratch_store_b64 off, v[20:21], off offset:444
	v_mul_f64_e32 v[36:37], s[40:41], v[204:205]
	v_mul_f64_e32 v[20:21], s[46:47], v[182:183]
	v_add_f64_e32 v[12:13], v[16:17], v[12:13]
	v_mul_f64_e32 v[16:17], s[48:49], v[226:227]
	s_clause 0x1
	scratch_store_b64 off, v[56:57], off offset:428
	scratch_store_b64 off, v[16:17], off offset:620
	v_fma_f64 v[16:17], v[206:207], s[36:37], -v[16:17]
	s_delay_alu instid0(VALU_DEP_1) | instskip(SKIP_3) | instid1(VALU_DEP_1)
	v_add_f64_e32 v[14:15], v[16:17], v[14:15]
	v_mul_f64_e32 v[16:17], s[52:53], v[236:237]
	scratch_store_b64 off, v[16:17], off offset:628 ; 8-byte Folded Spill
	v_fma_f64 v[16:17], v[210:211], s[38:39], v[16:17]
	v_add_f64_e32 v[184:185], v[16:17], v[12:13]
	v_mul_f64_e32 v[12:13], s[52:53], v[230:231]
	v_mul_f64_e32 v[16:17], s[26:27], v[204:205]
	s_clause 0x1
	scratch_store_b64 off, v[12:13], off offset:636
	scratch_store_b64 off, v[16:17], off offset:644
	v_fma_f64 v[12:13], v[220:221], s[38:39], -v[12:13]
	v_fma_f64 v[16:17], v[126:127], s[22:23], v[16:17]
	global_wb scope:SCOPE_SE
	s_wait_storecnt 0x0
	s_barrier_signal -1
	s_barrier_wait -1
	global_inv scope:SCOPE_SE
	v_add_f64_e32 v[186:187], v[12:13], v[14:15]
	v_mul_f64_e32 v[14:15], s[12:13], v[4:5]
	s_delay_alu instid0(VALU_DEP_1) | instskip(NEXT) | instid1(VALU_DEP_1)
	v_fma_f64 v[12:13], v[2:3], s[10:11], v[14:15]
	v_add_f64_e32 v[12:13], v[104:105], v[12:13]
	s_delay_alu instid0(VALU_DEP_1) | instskip(SKIP_1) | instid1(VALU_DEP_1)
	v_add_f64_e32 v[12:13], v[16:17], v[12:13]
	v_fma_f64 v[16:17], v[8:9], s[10:11], -v[28:29]
	v_add_f64_e32 v[16:17], v[106:107], v[16:17]
	s_delay_alu instid0(VALU_DEP_1) | instskip(SKIP_1) | instid1(VALU_DEP_1)
	v_add_f64_e32 v[16:17], v[18:19], v[16:17]
	v_fma_f64 v[18:19], v[150:151], s[30:31], v[240:241]
	v_add_f64_e32 v[12:13], v[18:19], v[12:13]
	v_fma_f64 v[18:19], v[166:167], s[30:31], -v[254:255]
	s_delay_alu instid0(VALU_DEP_1) | instskip(SKIP_1) | instid1(VALU_DEP_1)
	v_add_f64_e32 v[16:17], v[18:19], v[16:17]
	v_fma_f64 v[18:19], v[162:163], s[38:39], v[246:247]
	v_add_f64_e32 v[12:13], v[18:19], v[12:13]
	v_fma_f64 v[18:19], v[174:175], s[38:39], -v[160:161]
	;; [unrolled: 5-line block ×6, first 2 shown]
	v_fma_f64 v[18:19], v[146:147], s[30:31], -v[180:181]
	s_delay_alu instid0(VALU_DEP_2) | instskip(SKIP_2) | instid1(VALU_DEP_2)
	v_add_f64_e32 v[158:159], v[12:13], v[16:17]
	v_fma_f64 v[12:13], v[2:3], s[18:19], v[30:31]
	v_fma_f64 v[16:17], v[126:127], s[30:31], v[36:37]
	v_add_f64_e32 v[12:13], v[104:105], v[12:13]
	s_delay_alu instid0(VALU_DEP_1) | instskip(SKIP_1) | instid1(VALU_DEP_1)
	v_add_f64_e32 v[12:13], v[16:17], v[12:13]
	v_fma_f64 v[16:17], v[8:9], s[18:19], -v[32:33]
	v_add_f64_e32 v[16:17], v[106:107], v[16:17]
	s_delay_alu instid0(VALU_DEP_1) | instskip(SKIP_1) | instid1(VALU_DEP_1)
	v_add_f64_e32 v[16:17], v[18:19], v[16:17]
	v_fma_f64 v[18:19], v[150:151], s[38:39], v[148:149]
	v_add_f64_e32 v[12:13], v[18:19], v[12:13]
	v_fma_f64 v[18:19], v[166:167], s[38:39], -v[202:203]
	s_delay_alu instid0(VALU_DEP_1) | instskip(SKIP_1) | instid1(VALU_DEP_1)
	v_add_f64_e32 v[16:17], v[18:19], v[16:17]
	v_fma_f64 v[18:19], v[162:163], s[24:25], v[164:165]
	v_add_f64_e32 v[12:13], v[18:19], v[12:13]
	v_fma_f64 v[18:19], v[174:175], s[24:25], -v[20:21]
	s_delay_alu instid0(VALU_DEP_1) | instskip(SKIP_1) | instid1(VALU_DEP_1)
	v_add_f64_e32 v[16:17], v[18:19], v[16:17]
	v_fma_f64 v[18:19], v[178:179], s[10:11], v[208:209]
	v_add_f64_e32 v[18:19], v[18:19], v[12:13]
	v_mul_f64_e32 v[12:13], s[56:57], v[214:215]
	s_delay_alu instid0(VALU_DEP_1) | instskip(NEXT) | instid1(VALU_DEP_1)
	v_fma_f64 v[24:25], v[192:193], s[10:11], -v[12:13]
	v_add_f64_e32 v[16:17], v[24:25], v[16:17]
	v_fma_f64 v[24:25], v[188:189], s[14:15], v[212:213]
	s_delay_alu instid0(VALU_DEP_1) | instskip(SKIP_1) | instid1(VALU_DEP_1)
	v_add_f64_e32 v[18:19], v[24:25], v[18:19]
	v_mul_f64_e32 v[24:25], s[20:21], v[224:225]
	v_fma_f64 v[54:55], v[196:197], s[14:15], -v[24:25]
	s_delay_alu instid0(VALU_DEP_1) | instskip(SKIP_1) | instid1(VALU_DEP_1)
	v_add_f64_e32 v[54:55], v[54:55], v[16:17]
	v_fma_f64 v[16:17], v[200:201], s[22:23], v[198:199]
	v_add_f64_e32 v[18:19], v[16:17], v[18:19]
	v_mul_f64_e32 v[16:17], s[26:27], v[226:227]
	s_delay_alu instid0(VALU_DEP_1) | instskip(NEXT) | instid1(VALU_DEP_1)
	v_fma_f64 v[56:57], v[206:207], s[22:23], -v[16:17]
	v_add_f64_e32 v[54:55], v[56:57], v[54:55]
	v_fma_f64 v[56:57], v[210:211], s[36:37], v[176:177]
	s_delay_alu instid0(VALU_DEP_1) | instskip(SKIP_1) | instid1(VALU_DEP_1)
	v_add_f64_e32 v[152:153], v[56:57], v[18:19]
	v_mul_f64_e32 v[18:19], s[48:49], v[230:231]
	v_fma_f64 v[56:57], v[220:221], s[36:37], -v[18:19]
	s_delay_alu instid0(VALU_DEP_1)
	v_add_f64_e32 v[154:155], v[56:57], v[54:55]
	s_and_saveexec_b32 s1, s0
	s_cbranch_execz .LBB0_11
; %bb.10:
	v_mul_f64_e32 v[54:55], s[38:39], v[8:9]
	s_clause 0x1
	scratch_store_b64 off, v[58:59], off offset:668
	scratch_store_b64 off, v[44:45], off offset:676
	v_mul_f64_e32 v[58:59], s[36:37], v[8:9]
	scratch_store_b64 off, v[62:63], off offset:692 ; 8-byte Folded Spill
	v_mul_f64_e32 v[62:63], s[30:31], v[8:9]
	s_clause 0x2
	scratch_store_b64 off, v[46:47], off offset:700
	scratch_store_b64 off, v[48:49], off offset:708
	;; [unrolled: 1-line block ×3, first 2 shown]
	v_mul_f64_e32 v[46:47], s[24:25], v[8:9]
	scratch_store_b64 off, v[50:51], off offset:724 ; 8-byte Folded Spill
	v_mul_f64_e32 v[50:51], s[22:23], v[8:9]
	s_mov_b32 s59, 0x3fe9895b
	s_mov_b32 s58, s40
	;; [unrolled: 1-line block ×4, first 2 shown]
	s_clause 0x2
	scratch_store_b64 off, v[60:61], off offset:652
	scratch_store_b64 off, v[136:137], off offset:740
	;; [unrolled: 1-line block ×3, first 2 shown]
	v_mul_f64_e32 v[136:137], s[40:41], v[4:5]
	s_clause 0x2
	scratch_store_b64 off, v[64:65], off offset:732
	scratch_store_b64 off, v[94:95], off offset:764
	;; [unrolled: 1-line block ×3, first 2 shown]
	v_mov_b32_e32 v92, v238
	v_dual_mov_b32 v64, v140 :: v_dual_mov_b32 v93, v239
	scratch_store_b64 off, v[66:67], off offset:748 ; 8-byte Folded Spill
	v_mov_b32_e32 v67, v142
	v_mul_f64_e32 v[138:139], s[34:35], v[4:5]
	v_dual_mov_b32 v94, v134 :: v_dual_mov_b32 v95, v135
	v_fma_f64 v[56:57], v[10:11], s[44:45], v[54:55]
	v_fma_f64 v[54:55], v[10:11], s[52:53], v[54:55]
	;; [unrolled: 1-line block ×10, first 2 shown]
	v_mul_f64_e32 v[10:11], s[18:19], v[8:9]
	v_add_f64_e32 v[60:61], v[106:107], v[60:61]
	v_add_f64_e32 v[44:45], v[106:107], v[44:45]
	s_delay_alu instid0(VALU_DEP_3) | instskip(SKIP_1) | instid1(VALU_DEP_1)
	v_add_f64_e32 v[32:33], v[32:33], v[10:11]
	v_mul_f64_e32 v[10:11], s[18:19], v[2:3]
	v_add_f64_e64 v[30:31], v[10:11], -v[30:31]
	v_mul_f64_e32 v[10:11], s[10:11], v[8:9]
	v_mul_f64_e32 v[8:9], s[14:15], v[8:9]
	s_delay_alu instid0(VALU_DEP_2) | instskip(SKIP_1) | instid1(VALU_DEP_3)
	v_add_f64_e32 v[28:29], v[28:29], v[10:11]
	v_mul_f64_e32 v[10:11], s[10:11], v[2:3]
	v_add_f64_e32 v[6:7], v[6:7], v[8:9]
	v_mul_f64_e32 v[8:9], s[52:53], v[4:5]
	s_delay_alu instid0(VALU_DEP_4) | instskip(NEXT) | instid1(VALU_DEP_4)
	v_add_f64_e32 v[28:29], v[106:107], v[28:29]
	v_add_f64_e64 v[14:15], v[10:11], -v[14:15]
	v_mul_f64_e32 v[10:11], s[48:49], v[4:5]
	v_mul_f64_e32 v[4:5], s[26:27], v[4:5]
	v_fma_f64 v[140:141], v[2:3], s[38:39], v[8:9]
	v_fma_f64 v[8:9], v[2:3], s[38:39], -v[8:9]
	v_add_f64_e32 v[14:15], v[104:105], v[14:15]
	v_fma_f64 v[238:239], v[2:3], s[36:37], v[10:11]
	v_fma_f64 v[142:143], v[2:3], s[36:37], -v[10:11]
	v_fma_f64 v[10:11], v[2:3], s[30:31], v[136:137]
	v_fma_f64 v[136:137], v[2:3], s[30:31], -v[136:137]
	;; [unrolled: 2-line block ×3, first 2 shown]
	v_add_f64_e32 v[140:141], v[104:105], v[140:141]
	v_add_f64_e32 v[10:11], v[104:105], v[10:11]
	s_delay_alu instid0(VALU_DEP_3)
	v_add_f64_e32 v[4:5], v[104:105], v[4:5]
	scratch_store_b64 off, v[10:11], off offset:828 ; 8-byte Folded Spill
	v_add_f64_e32 v[10:11], v[106:107], v[62:63]
	scratch_store_b64 off, v[4:5], off offset:868 ; 8-byte Folded Spill
	v_mul_f64_e32 v[4:5], s[14:15], v[146:147]
	scratch_store_b64 off, v[10:11], off offset:852 ; 8-byte Folded Spill
	v_add_f64_e32 v[10:11], v[104:105], v[136:137]
	scratch_store_b64 off, v[10:11], off offset:844 ; 8-byte Folded Spill
	v_add_f64_e32 v[10:11], v[106:107], v[48:49]
	scratch_store_b64 off, v[10:11], off offset:820 ; 8-byte Folded Spill
	v_add_f64_e32 v[10:11], v[106:107], v[46:47]
	scratch_store_b64 off, v[10:11], off offset:860 ; 8-byte Folded Spill
	v_add_f64_e32 v[10:11], v[106:107], v[34:35]
	v_add_f64_e32 v[34:35], v[106:107], v[32:33]
	scratch_store_b64 off, v[10:11], off offset:812 ; 8-byte Folded Spill
	v_add_f64_e32 v[10:11], v[104:105], v[134:135]
	scratch_store_b64 off, v[132:133], off offset:780 ; 8-byte Folded Spill
	v_fma_f64 v[132:133], v[2:3], s[24:25], v[138:139]
	v_fma_f64 v[138:139], v[2:3], s[24:25], -v[138:139]
	v_mul_f64_e32 v[2:3], s[14:15], v[2:3]
	scratch_store_b64 off, v[10:11], off offset:804 ; 8-byte Folded Spill
	v_add_f64_e32 v[10:11], v[106:107], v[50:51]
	scratch_store_b64 off, v[44:45], off offset:836 ; 8-byte Folded Spill
	v_add_f64_e32 v[65:66], v[104:105], v[132:133]
	v_add_f64_e64 v[0:1], v[2:3], -v[0:1]
	v_add_f64_e32 v[2:3], v[106:107], v[26:27]
	v_add_f64_e32 v[44:45], v[104:105], v[30:31]
	;; [unrolled: 1-line block ×4, first 2 shown]
	scratch_store_b64 off, v[10:11], off offset:876 ; 8-byte Folded Spill
	v_mul_f64_e32 v[10:11], s[36:37], v[166:167]
	scratch_store_b64 off, v[2:3], off offset:788 ; 8-byte Folded Spill
	v_add_f64_e32 v[2:3], v[104:105], v[22:23]
	v_add_f64_e32 v[22:23], v[104:105], v[8:9]
	;; [unrolled: 1-line block ×3, first 2 shown]
	v_fma_f64 v[30:31], v[172:173], s[42:43], v[10:11]
	v_fma_f64 v[10:11], v[172:173], s[48:49], v[10:11]
	scratch_store_b64 off, v[2:3], off offset:796 ; 8-byte Folded Spill
	v_add_f64_e32 v[2:3], v[106:107], v[56:57]
	v_add_f64_e32 v[56:57], v[104:105], v[142:143]
	;; [unrolled: 1-line block ×5, first 2 shown]
	v_mul_f64_e32 v[6:7], s[54:55], v[204:205]
	v_fma_f64 v[0:1], v[170:171], s[20:21], v[4:5]
	v_fma_f64 v[4:5], v[170:171], s[54:55], v[4:5]
	v_mul_f64_e32 v[138:139], s[22:23], v[220:221]
	s_delay_alu instid0(VALU_DEP_3) | instskip(SKIP_1) | instid1(VALU_DEP_4)
	v_add_f64_e32 v[0:1], v[0:1], v[2:3]
	v_fma_f64 v[2:3], v[126:127], s[14:15], v[6:7]
	v_add_f64_e32 v[4:5], v[4:5], v[26:27]
	v_fma_f64 v[6:7], v[126:127], s[14:15], -v[6:7]
	v_mul_f64_e32 v[26:27], s[50:51], v[204:205]
	v_add_f64_e32 v[0:1], v[30:31], v[0:1]
	v_mul_f64_e32 v[30:31], s[48:49], v[216:217]
	v_add_f64_e32 v[2:3], v[2:3], v[140:141]
	v_add_f64_e32 v[6:7], v[6:7], v[22:23]
	;; [unrolled: 1-line block ×3, first 2 shown]
	v_mul_f64_e32 v[140:141], s[60:61], v[236:237]
	v_fma_f64 v[32:33], v[150:151], s[36:37], v[30:31]
	v_fma_f64 v[10:11], v[150:151], s[36:37], -v[30:31]
	v_fma_f64 v[30:31], v[126:127], s[18:19], v[26:27]
	v_fma_f64 v[26:27], v[126:127], s[18:19], -v[26:27]
	v_fma_f64 v[22:23], v[210:211], s[22:23], -v[140:141]
	v_add_f64_e32 v[2:3], v[32:33], v[2:3]
	v_mul_f64_e32 v[32:33], s[10:11], v[174:175]
	v_add_f64_e32 v[6:7], v[10:11], v[6:7]
	v_add_f64_e32 v[8:9], v[30:31], v[8:9]
	v_mul_f64_e32 v[30:31], s[22:23], v[166:167]
	v_add_f64_e32 v[26:27], v[26:27], v[56:57]
	v_mul_f64_e32 v[56:57], s[36:37], v[192:193]
	v_fma_f64 v[46:47], v[182:183], s[12:13], v[32:33]
	v_fma_f64 v[10:11], v[182:183], s[56:57], v[32:33]
	;; [unrolled: 1-line block ×4, first 2 shown]
	v_add_f64_e32 v[56:57], v[168:169], v[56:57]
	v_mul_f64_e32 v[168:169], s[22:23], v[196:197]
	v_add_f64_e32 v[0:1], v[46:47], v[0:1]
	v_mul_f64_e32 v[46:47], s[56:57], v[218:219]
	v_add_f64_e32 v[4:5], v[10:11], v[4:5]
	s_delay_alu instid0(VALU_DEP_2) | instskip(SKIP_1) | instid1(VALU_DEP_2)
	v_fma_f64 v[48:49], v[162:163], s[10:11], v[46:47]
	v_fma_f64 v[10:11], v[162:163], s[10:11], -v[46:47]
	v_add_f64_e32 v[2:3], v[48:49], v[2:3]
	v_mul_f64_e32 v[48:49], s[30:31], v[192:193]
	s_delay_alu instid0(VALU_DEP_3) | instskip(NEXT) | instid1(VALU_DEP_2)
	v_add_f64_e32 v[6:7], v[10:11], v[6:7]
	v_fma_f64 v[50:51], v[214:215], s[58:59], v[48:49]
	v_fma_f64 v[10:11], v[214:215], s[40:41], v[48:49]
	s_delay_alu instid0(VALU_DEP_2) | instskip(SKIP_1) | instid1(VALU_DEP_3)
	v_add_f64_e32 v[0:1], v[50:51], v[0:1]
	v_mul_f64_e32 v[50:51], s[40:41], v[228:229]
	v_add_f64_e32 v[4:5], v[10:11], v[4:5]
	s_delay_alu instid0(VALU_DEP_2) | instskip(SKIP_1) | instid1(VALU_DEP_2)
	v_fma_f64 v[58:59], v[178:179], s[30:31], v[50:51]
	v_fma_f64 v[10:11], v[178:179], s[30:31], -v[50:51]
	v_add_f64_e32 v[2:3], v[58:59], v[2:3]
	v_mul_f64_e32 v[58:59], s[18:19], v[196:197]
	s_delay_alu instid0(VALU_DEP_3) | instskip(NEXT) | instid1(VALU_DEP_2)
	v_add_f64_e32 v[6:7], v[10:11], v[6:7]
	v_fma_f64 v[62:63], v[224:225], s[28:29], v[58:59]
	v_fma_f64 v[10:11], v[224:225], s[50:51], v[58:59]
	s_delay_alu instid0(VALU_DEP_2) | instskip(SKIP_1) | instid1(VALU_DEP_3)
	;; [unrolled: 13-line block ×3, first 2 shown]
	v_add_f64_e32 v[0:1], v[134:135], v[0:1]
	v_mul_f64_e32 v[134:135], s[34:35], v[234:235]
	v_add_f64_e32 v[4:5], v[10:11], v[4:5]
	s_delay_alu instid0(VALU_DEP_2) | instskip(SKIP_1) | instid1(VALU_DEP_2)
	v_fma_f64 v[10:11], v[200:201], s[24:25], -v[134:135]
	v_fma_f64 v[136:137], v[200:201], s[24:25], v[134:135]
	v_add_f64_e32 v[10:11], v[10:11], v[6:7]
	v_fma_f64 v[6:7], v[230:231], s[60:61], v[138:139]
	s_delay_alu instid0(VALU_DEP_3) | instskip(SKIP_1) | instid1(VALU_DEP_3)
	v_add_f64_e32 v[136:137], v[136:137], v[2:3]
	v_fma_f64 v[2:3], v[230:231], s[26:27], v[138:139]
	v_add_f64_e32 v[6:7], v[6:7], v[4:5]
	v_add_f64_e32 v[4:5], v[22:23], v[10:11]
	v_mul_f64_e32 v[22:23], s[18:19], v[146:147]
	s_delay_alu instid0(VALU_DEP_4) | instskip(SKIP_1) | instid1(VALU_DEP_3)
	v_add_f64_e32 v[2:3], v[2:3], v[0:1]
	v_fma_f64 v[0:1], v[210:211], s[22:23], v[140:141]
	v_fma_f64 v[10:11], v[170:171], s[28:29], v[22:23]
	;; [unrolled: 1-line block ×3, first 2 shown]
	s_delay_alu instid0(VALU_DEP_3) | instskip(NEXT) | instid1(VALU_DEP_3)
	v_add_f64_e32 v[0:1], v[0:1], v[136:137]
	v_add_f64_e32 v[10:11], v[10:11], v[60:61]
	s_delay_alu instid0(VALU_DEP_3) | instskip(SKIP_1) | instid1(VALU_DEP_3)
	v_add_f64_e32 v[22:23], v[22:23], v[54:55]
	v_mul_f64_e32 v[54:55], s[38:39], v[162:163]
	v_add_f64_e32 v[10:11], v[32:33], v[10:11]
	v_mul_f64_e32 v[32:33], s[26:27], v[216:217]
	s_delay_alu instid0(VALU_DEP_4) | instskip(NEXT) | instid1(VALU_DEP_4)
	v_add_f64_e32 v[22:23], v[30:31], v[22:23]
	v_add_f64_e64 v[54:55], v[54:55], -v[246:247]
	s_delay_alu instid0(VALU_DEP_3) | instskip(SKIP_1) | instid1(VALU_DEP_2)
	v_fma_f64 v[46:47], v[150:151], s[22:23], v[32:33]
	v_fma_f64 v[30:31], v[150:151], s[22:23], -v[32:33]
	v_add_f64_e32 v[8:9], v[46:47], v[8:9]
	v_mul_f64_e32 v[46:47], s[30:31], v[174:175]
	s_delay_alu instid0(VALU_DEP_3) | instskip(NEXT) | instid1(VALU_DEP_2)
	v_add_f64_e32 v[26:27], v[30:31], v[26:27]
	v_fma_f64 v[48:49], v[182:183], s[40:41], v[46:47]
	v_fma_f64 v[30:31], v[182:183], s[58:59], v[46:47]
	s_delay_alu instid0(VALU_DEP_2) | instskip(SKIP_1) | instid1(VALU_DEP_3)
	v_add_f64_e32 v[10:11], v[48:49], v[10:11]
	v_mul_f64_e32 v[48:49], s[58:59], v[218:219]
	v_add_f64_e32 v[22:23], v[30:31], v[22:23]
	s_delay_alu instid0(VALU_DEP_2) | instskip(SKIP_2) | instid1(VALU_DEP_3)
	v_fma_f64 v[50:51], v[162:163], s[30:31], v[48:49]
	v_fma_f64 v[30:31], v[162:163], s[30:31], -v[48:49]
	v_mul_f64_e32 v[48:49], s[30:31], v[150:151]
	v_add_f64_e32 v[8:9], v[50:51], v[8:9]
	v_mul_f64_e32 v[50:51], s[14:15], v[192:193]
	s_delay_alu instid0(VALU_DEP_4) | instskip(NEXT) | instid1(VALU_DEP_4)
	v_add_f64_e32 v[26:27], v[30:31], v[26:27]
	v_add_f64_e64 v[48:49], v[48:49], -v[240:241]
	s_delay_alu instid0(VALU_DEP_3) | instskip(SKIP_2) | instid1(VALU_DEP_3)
	v_fma_f64 v[58:59], v[214:215], s[54:55], v[50:51]
	v_fma_f64 v[30:31], v[214:215], s[20:21], v[50:51]
	v_mul_f64_e32 v[50:51], s[38:39], v[174:175]
	v_add_f64_e32 v[10:11], v[58:59], v[10:11]
	v_mul_f64_e32 v[58:59], s[20:21], v[228:229]
	s_delay_alu instid0(VALU_DEP_4) | instskip(NEXT) | instid1(VALU_DEP_4)
	v_add_f64_e32 v[22:23], v[30:31], v[22:23]
	v_add_f64_e32 v[50:51], v[160:161], v[50:51]
	v_mul_f64_e32 v[160:161], s[38:39], v[192:193]
	s_delay_alu instid0(VALU_DEP_4) | instskip(SKIP_2) | instid1(VALU_DEP_3)
	v_fma_f64 v[60:61], v[178:179], s[14:15], v[58:59]
	v_fma_f64 v[30:31], v[178:179], s[14:15], -v[58:59]
	v_mul_f64_e32 v[58:59], s[36:37], v[178:179]
	v_add_f64_e32 v[8:9], v[60:61], v[8:9]
	v_mul_f64_e32 v[60:61], s[38:39], v[196:197]
	s_delay_alu instid0(VALU_DEP_4) | instskip(NEXT) | instid1(VALU_DEP_4)
	v_add_f64_e32 v[26:27], v[30:31], v[26:27]
	v_add_f64_e64 v[58:59], v[58:59], -v[248:249]
	s_delay_alu instid0(VALU_DEP_3) | instskip(SKIP_2) | instid1(VALU_DEP_3)
	v_fma_f64 v[62:63], v[224:225], s[44:45], v[60:61]
	v_fma_f64 v[30:31], v[224:225], s[52:53], v[60:61]
	v_mul_f64_e32 v[60:61], s[24:25], v[196:197]
	v_add_f64_e32 v[10:11], v[62:63], v[10:11]
	v_mul_f64_e32 v[62:63], s[52:53], v[232:233]
	s_delay_alu instid0(VALU_DEP_4) | instskip(NEXT) | instid1(VALU_DEP_4)
	v_add_f64_e32 v[22:23], v[30:31], v[22:23]
	v_add_f64_e32 v[60:61], v[190:191], v[60:61]
	v_mul_f64_e32 v[190:191], s[20:21], v[234:235]
	s_delay_alu instid0(VALU_DEP_4) | instskip(SKIP_2) | instid1(VALU_DEP_3)
	v_fma_f64 v[132:133], v[188:189], s[38:39], v[62:63]
	v_fma_f64 v[30:31], v[188:189], s[38:39], -v[62:63]
	v_mul_f64_e32 v[62:63], s[58:59], v[234:235]
	v_add_f64_e32 v[8:9], v[132:133], v[8:9]
	v_mul_f64_e32 v[132:133], s[10:11], v[206:207]
	s_delay_alu instid0(VALU_DEP_4) | instskip(NEXT) | instid1(VALU_DEP_2)
	v_add_f64_e32 v[26:27], v[30:31], v[26:27]
	v_fma_f64 v[134:135], v[226:227], s[12:13], v[132:133]
	v_fma_f64 v[30:31], v[226:227], s[56:57], v[132:133]
	v_mul_f64_e32 v[132:133], s[10:11], v[220:221]
	s_delay_alu instid0(VALU_DEP_3) | instskip(SKIP_1) | instid1(VALU_DEP_4)
	v_add_f64_e32 v[10:11], v[134:135], v[10:11]
	v_mul_f64_e32 v[134:135], s[56:57], v[234:235]
	v_add_f64_e32 v[22:23], v[30:31], v[22:23]
	v_mul_f64_e32 v[234:235], s[52:53], v[234:235]
	s_delay_alu instid0(VALU_DEP_3) | instskip(SKIP_2) | instid1(VALU_DEP_3)
	v_fma_f64 v[136:137], v[200:201], s[10:11], v[134:135]
	v_fma_f64 v[30:31], v[200:201], s[10:11], -v[134:135]
	v_mul_f64_e32 v[134:135], s[56:57], v[236:237]
	v_add_f64_e32 v[8:9], v[136:137], v[8:9]
	v_mul_f64_e32 v[136:137], s[24:25], v[220:221]
	s_delay_alu instid0(VALU_DEP_4) | instskip(NEXT) | instid1(VALU_DEP_2)
	v_add_f64_e32 v[26:27], v[30:31], v[26:27]
	v_fma_f64 v[138:139], v[230:231], s[46:47], v[136:137]
	v_fma_f64 v[30:31], v[230:231], s[34:35], v[136:137]
	v_mul_f64_e32 v[136:137], s[36:37], v[146:147]
	s_delay_alu instid0(VALU_DEP_3) | instskip(SKIP_1) | instid1(VALU_DEP_4)
	v_add_f64_e32 v[10:11], v[138:139], v[10:11]
	v_mul_f64_e32 v[138:139], s[34:35], v[236:237]
	v_add_f64_e32 v[32:33], v[30:31], v[22:23]
	v_mul_f64_e32 v[22:23], s[22:23], v[146:147]
	s_delay_alu instid0(VALU_DEP_3) | instskip(SKIP_1) | instid1(VALU_DEP_3)
	v_fma_f64 v[46:47], v[210:211], s[24:25], -v[138:139]
	v_fma_f64 v[140:141], v[210:211], s[24:25], v[138:139]
	v_add_f64_e32 v[22:23], v[242:243], v[22:23]
	v_mul_f64_e32 v[138:139], s[42:43], v[204:205]
	s_delay_alu instid0(VALU_DEP_4)
	v_add_f64_e32 v[30:31], v[46:47], v[26:27]
	scratch_load_b64 v[46:47], off, off offset:644 th:TH_LOAD_LU ; 8-byte Folded Reload
	v_mul_f64_e32 v[26:27], s[22:23], v[126:127]
	v_add_f64_e32 v[22:23], v[22:23], v[28:29]
	v_mul_f64_e32 v[28:29], s[18:19], v[206:207]
	v_add_f64_e32 v[8:9], v[140:141], v[8:9]
	v_mul_f64_e32 v[140:141], s[10:11], v[166:167]
	s_delay_alu instid0(VALU_DEP_3) | instskip(SKIP_4) | instid1(VALU_DEP_2)
	v_add_f64_e32 v[28:29], v[194:195], v[28:29]
	v_mul_f64_e32 v[194:195], s[30:31], v[220:221]
	s_wait_loadcnt 0x0
	v_add_f64_e64 v[26:27], v[26:27], -v[46:47]
	v_mul_f64_e32 v[46:47], s[30:31], v[166:167]
	v_add_f64_e32 v[14:15], v[26:27], v[14:15]
	s_delay_alu instid0(VALU_DEP_2) | instskip(SKIP_1) | instid1(VALU_DEP_3)
	v_add_f64_e32 v[46:47], v[254:255], v[46:47]
	v_mul_f64_e32 v[26:27], s[24:25], v[188:189]
	v_add_f64_e32 v[14:15], v[48:49], v[14:15]
	s_delay_alu instid0(VALU_DEP_3) | instskip(NEXT) | instid1(VALU_DEP_3)
	v_add_f64_e32 v[22:23], v[46:47], v[22:23]
	v_add_f64_e64 v[26:27], v[26:27], -v[250:251]
	v_mul_f64_e32 v[46:47], s[18:19], v[200:201]
	v_mul_f64_e32 v[48:49], s[14:15], v[220:221]
	;; [unrolled: 1-line block ×3, first 2 shown]
	v_add_f64_e32 v[14:15], v[54:55], v[14:15]
	v_add_f64_e32 v[22:23], v[50:51], v[22:23]
	v_mul_f64_e32 v[50:51], s[18:19], v[192:193]
	v_add_f64_e64 v[46:47], v[46:47], -v[252:253]
	v_add_f64_e32 v[48:49], v[222:223], v[48:49]
	v_mul_f64_e32 v[54:55], s[28:29], v[228:229]
	v_add_f64_e32 v[14:15], v[58:59], v[14:15]
	v_add_f64_e32 v[22:23], v[56:57], v[22:23]
	v_mul_f64_e32 v[56:57], s[36:37], v[196:197]
	v_mul_f64_e32 v[58:59], s[48:49], v[232:233]
	s_delay_alu instid0(VALU_DEP_4) | instskip(SKIP_3) | instid1(VALU_DEP_4)
	v_add_f64_e32 v[14:15], v[26:27], v[14:15]
	v_mul_f64_e32 v[26:27], s[14:15], v[210:211]
	v_add_f64_e32 v[22:23], v[60:61], v[22:23]
	v_mul_f64_e32 v[60:61], s[30:31], v[206:207]
	v_add_f64_e32 v[14:15], v[46:47], v[14:15]
	s_delay_alu instid0(VALU_DEP_4) | instskip(NEXT) | instid1(VALU_DEP_4)
	v_add_f64_e64 v[26:27], v[26:27], -v[144:145]
	v_add_f64_e32 v[22:23], v[28:29], v[22:23]
	v_mul_f64_e32 v[28:29], s[38:39], v[150:151]
	v_mul_f64_e32 v[46:47], s[10:11], v[192:193]
	;; [unrolled: 1-line block ×3, first 2 shown]
	v_add_f64_e32 v[238:239], v[26:27], v[14:15]
	v_mul_f64_e32 v[14:15], s[30:31], v[146:147]
	v_add_f64_e32 v[240:241], v[48:49], v[22:23]
	v_mul_f64_e32 v[22:23], s[30:31], v[126:127]
	v_mul_f64_e32 v[26:27], s[38:39], v[166:167]
	v_add_f64_e64 v[28:29], v[28:29], -v[148:149]
	v_add_f64_e32 v[12:13], v[12:13], v[46:47]
	v_mul_f64_e32 v[46:47], s[10:11], v[178:179]
	v_mul_f64_e32 v[48:49], s[14:15], v[196:197]
	;; [unrolled: 1-line block ×3, first 2 shown]
	v_add_f64_e32 v[14:15], v[180:181], v[14:15]
	v_mul_f64_e32 v[180:181], s[14:15], v[206:207]
	v_add_f64_e64 v[22:23], v[22:23], -v[36:37]
	v_add_f64_e32 v[26:27], v[202:203], v[26:27]
	v_mul_f64_e32 v[36:37], s[24:25], v[174:175]
	v_mul_f64_e32 v[202:203], s[24:25], v[146:147]
	v_add_f64_e64 v[46:47], v[46:47], -v[208:209]
	v_add_f64_e32 v[24:25], v[24:25], v[48:49]
	v_mul_f64_e32 v[48:49], s[54:55], v[218:219]
	v_mul_f64_e32 v[218:219], s[48:49], v[218:219]
	scratch_load_b64 v[208:209], off, off offset:844 th:TH_LOAD_LU ; 8-byte Folded Reload
	v_add_f64_e32 v[14:15], v[14:15], v[34:35]
	v_mul_f64_e32 v[34:35], s[14:15], v[188:189]
	v_add_f64_e32 v[22:23], v[22:23], v[44:45]
	v_mul_f64_e32 v[44:45], s[46:47], v[216:217]
	;; [unrolled: 2-line block ×4, first 2 shown]
	v_add_f64_e32 v[22:23], v[28:29], v[22:23]
	v_add_f64_e64 v[34:35], v[34:35], -v[212:213]
	v_mul_f64_e32 v[28:29], s[38:39], v[146:147]
	v_add_f64_e64 v[36:37], v[36:37], -v[164:165]
	v_mul_f64_e32 v[164:165], s[52:53], v[228:229]
	v_mul_f64_e32 v[228:229], s[60:61], v[228:229]
	v_add_f64_e32 v[14:15], v[20:21], v[14:15]
	v_add_f64_e32 v[16:17], v[16:17], v[26:27]
	scratch_load_b64 v[26:27], off, off offset:852 th:TH_LOAD_LU ; 8-byte Folded Reload
	v_add_f64_e32 v[20:21], v[36:37], v[22:23]
	v_mul_f64_e32 v[22:23], s[22:23], v[200:201]
	v_mul_f64_e32 v[36:37], s[24:25], v[166:167]
	v_add_f64_e32 v[12:13], v[12:13], v[14:15]
	s_delay_alu instid0(VALU_DEP_4)
	v_add_f64_e32 v[14:15], v[46:47], v[20:21]
	v_mul_f64_e32 v[20:21], s[36:37], v[220:221]
	v_add_f64_e64 v[22:23], v[22:23], -v[198:199]
	v_mul_f64_e32 v[46:47], s[14:15], v[174:175]
	v_mul_f64_e32 v[198:199], s[40:41], v[236:237]
	;; [unrolled: 1-line block ×3, first 2 shown]
	v_add_f64_e32 v[12:13], v[24:25], v[12:13]
	v_fma_f64 v[24:25], v[172:173], s[56:57], v[140:141]
	v_fma_f64 v[140:141], v[172:173], s[12:13], v[140:141]
	v_add_f64_e32 v[14:15], v[34:35], v[14:15]
	v_add_f64_e32 v[18:19], v[18:19], v[20:21]
	v_mul_f64_e32 v[20:21], s[36:37], v[210:211]
	v_mul_f64_e32 v[34:35], s[52:53], v[204:205]
	;; [unrolled: 1-line block ×3, first 2 shown]
	v_add_f64_e32 v[12:13], v[16:17], v[12:13]
	v_add_f64_e32 v[16:17], v[22:23], v[14:15]
	scratch_load_b64 v[22:23], off, off offset:860 th:TH_LOAD_LU ; 8-byte Folded Reload
	v_add_f64_e64 v[20:21], v[20:21], -v[176:177]
	v_mul_f64_e32 v[176:177], s[60:61], v[232:233]
	v_mul_f64_e32 v[232:233], s[12:13], v[232:233]
	v_add_f64_e32 v[14:15], v[18:19], v[12:13]
	scratch_load_b64 v[18:19], off, off offset:876 th:TH_LOAD_LU ; 8-byte Folded Reload
	v_add_f64_e32 v[12:13], v[20:21], v[16:17]
	scratch_load_b64 v[20:21], off, off offset:868 th:TH_LOAD_LU ; 8-byte Folded Reload
	v_fma_f64 v[16:17], v[170:171], s[52:53], v[28:29]
	v_fma_f64 v[28:29], v[170:171], s[44:45], v[28:29]
	s_wait_loadcnt 0x1
	s_delay_alu instid0(VALU_DEP_2) | instskip(SKIP_3) | instid1(VALU_DEP_2)
	v_add_f64_e32 v[16:17], v[16:17], v[18:19]
	v_fma_f64 v[18:19], v[126:127], s[38:39], -v[34:35]
	v_fma_f64 v[34:35], v[126:127], s[38:39], v[34:35]
	s_wait_loadcnt 0x0
	v_add_f64_e32 v[18:19], v[18:19], v[20:21]
	v_fma_f64 v[20:21], v[172:173], s[46:47], v[36:37]
	v_fma_f64 v[36:37], v[172:173], s[34:35], v[36:37]
	s_delay_alu instid0(VALU_DEP_2) | instskip(SKIP_1) | instid1(VALU_DEP_1)
	v_add_f64_e32 v[16:17], v[20:21], v[16:17]
	v_fma_f64 v[20:21], v[150:151], s[24:25], -v[44:45]
	v_add_f64_e32 v[18:19], v[20:21], v[18:19]
	v_fma_f64 v[20:21], v[182:183], s[54:55], v[46:47]
	s_delay_alu instid0(VALU_DEP_1) | instskip(SKIP_1) | instid1(VALU_DEP_1)
	v_add_f64_e32 v[16:17], v[20:21], v[16:17]
	v_fma_f64 v[20:21], v[162:163], s[14:15], -v[48:49]
	v_add_f64_e32 v[18:19], v[20:21], v[18:19]
	v_fma_f64 v[20:21], v[214:215], s[28:29], v[50:51]
	s_delay_alu instid0(VALU_DEP_1) | instskip(SKIP_1) | instid1(VALU_DEP_1)
	;; [unrolled: 5-line block ×5, first 2 shown]
	v_add_f64_e32 v[18:19], v[18:19], v[16:17]
	v_fma_f64 v[16:17], v[210:211], s[10:11], -v[134:135]
	v_add_f64_e32 v[16:17], v[16:17], v[20:21]
	v_fma_f64 v[20:21], v[170:171], s[42:43], v[136:137]
	v_fma_f64 v[136:137], v[170:171], s[48:49], v[136:137]
	s_delay_alu instid0(VALU_DEP_2) | instskip(SKIP_2) | instid1(VALU_DEP_3)
	v_add_f64_e32 v[20:21], v[20:21], v[22:23]
	v_fma_f64 v[22:23], v[126:127], s[36:37], -v[138:139]
	v_fma_f64 v[138:139], v[126:127], s[36:37], v[138:139]
	v_add_f64_e32 v[20:21], v[24:25], v[20:21]
	s_delay_alu instid0(VALU_DEP_3) | instskip(SKIP_1) | instid1(VALU_DEP_4)
	v_add_f64_e32 v[22:23], v[22:23], v[142:143]
	v_mul_f64_e32 v[142:143], s[18:19], v[174:175]
	v_add_f64_e32 v[138:139], v[138:139], v[65:66]
	scratch_load_b32 v65, off, off offset:336 ; 4-byte Folded Reload
	v_fma_f64 v[24:25], v[182:183], s[28:29], v[142:143]
	s_delay_alu instid0(VALU_DEP_1) | instskip(SKIP_1) | instid1(VALU_DEP_1)
	v_add_f64_e32 v[20:21], v[24:25], v[20:21]
	v_fma_f64 v[24:25], v[150:151], s[10:11], -v[144:145]
	v_add_f64_e32 v[22:23], v[24:25], v[22:23]
	v_fma_f64 v[24:25], v[162:163], s[18:19], -v[148:149]
	s_delay_alu instid0(VALU_DEP_1) | instskip(SKIP_1) | instid1(VALU_DEP_1)
	v_add_f64_e32 v[22:23], v[24:25], v[22:23]
	v_fma_f64 v[24:25], v[214:215], s[52:53], v[160:161]
	v_add_f64_e32 v[20:21], v[24:25], v[20:21]
	v_fma_f64 v[24:25], v[178:179], s[38:39], -v[164:165]
	s_delay_alu instid0(VALU_DEP_1) | instskip(SKIP_1) | instid1(VALU_DEP_1)
	v_add_f64_e32 v[22:23], v[24:25], v[22:23]
	v_fma_f64 v[24:25], v[224:225], s[60:61], v[168:169]
	v_add_f64_e32 v[20:21], v[24:25], v[20:21]
	v_fma_f64 v[24:25], v[188:189], s[22:23], -v[176:177]
	s_delay_alu instid0(VALU_DEP_1) | instskip(SKIP_1) | instid1(VALU_DEP_1)
	v_add_f64_e32 v[22:23], v[24:25], v[22:23]
	v_fma_f64 v[24:25], v[226:227], s[20:21], v[180:181]
	v_add_f64_e32 v[20:21], v[24:25], v[20:21]
	v_fma_f64 v[24:25], v[200:201], s[14:15], -v[190:191]
	s_delay_alu instid0(VALU_DEP_1) | instskip(SKIP_1) | instid1(VALU_DEP_1)
	v_add_f64_e32 v[24:25], v[24:25], v[22:23]
	v_fma_f64 v[22:23], v[230:231], s[40:41], v[194:195]
	v_add_f64_e32 v[22:23], v[22:23], v[20:21]
	v_fma_f64 v[20:21], v[210:211], s[30:31], -v[198:199]
	s_delay_alu instid0(VALU_DEP_1) | instskip(SKIP_2) | instid1(VALU_DEP_2)
	v_add_f64_e32 v[20:21], v[20:21], v[24:25]
	v_fma_f64 v[24:25], v[170:171], s[46:47], v[202:203]
	v_fma_f64 v[202:203], v[170:171], s[34:35], v[202:203]
	v_add_f64_e32 v[24:25], v[24:25], v[26:27]
	v_fma_f64 v[26:27], v[126:127], s[24:25], -v[204:205]
	v_fma_f64 v[204:205], v[126:127], s[24:25], v[204:205]
	s_delay_alu instid0(VALU_DEP_2) | instskip(SKIP_1) | instid1(VALU_DEP_1)
	v_add_f64_e32 v[26:27], v[26:27], v[208:209]
	v_mul_f64_e32 v[208:209], s[14:15], v[166:167]
	v_fma_f64 v[212:213], v[172:173], s[20:21], v[208:209]
	v_fma_f64 v[208:209], v[172:173], s[54:55], v[208:209]
	s_delay_alu instid0(VALU_DEP_2) | instskip(SKIP_1) | instid1(VALU_DEP_1)
	v_add_f64_e32 v[24:25], v[212:213], v[24:25]
	v_mul_f64_e32 v[212:213], s[20:21], v[216:217]
	v_fma_f64 v[216:217], v[150:151], s[14:15], -v[212:213]
	s_delay_alu instid0(VALU_DEP_1) | instskip(SKIP_1) | instid1(VALU_DEP_1)
	v_add_f64_e32 v[26:27], v[216:217], v[26:27]
	v_mul_f64_e32 v[216:217], s[36:37], v[174:175]
	v_fma_f64 v[222:223], v[182:183], s[48:49], v[216:217]
	s_delay_alu instid0(VALU_DEP_1) | instskip(SKIP_1) | instid1(VALU_DEP_1)
	v_add_f64_e32 v[24:25], v[222:223], v[24:25]
	v_fma_f64 v[222:223], v[162:163], s[36:37], -v[218:219]
	v_add_f64_e32 v[26:27], v[222:223], v[26:27]
	v_mul_f64_e32 v[222:223], s[22:23], v[192:193]
	s_delay_alu instid0(VALU_DEP_1) | instskip(NEXT) | instid1(VALU_DEP_1)
	v_fma_f64 v[242:243], v[214:215], s[60:61], v[222:223]
	v_add_f64_e32 v[24:25], v[242:243], v[24:25]
	v_fma_f64 v[242:243], v[178:179], s[22:23], -v[228:229]
	s_delay_alu instid0(VALU_DEP_1) | instskip(SKIP_1) | instid1(VALU_DEP_1)
	v_add_f64_e32 v[26:27], v[242:243], v[26:27]
	v_mul_f64_e32 v[242:243], s[10:11], v[196:197]
	v_fma_f64 v[246:247], v[224:225], s[12:13], v[242:243]
	s_delay_alu instid0(VALU_DEP_1) | instskip(SKIP_1) | instid1(VALU_DEP_1)
	v_add_f64_e32 v[24:25], v[246:247], v[24:25]
	v_fma_f64 v[246:247], v[188:189], s[10:11], -v[232:233]
	v_add_f64_e32 v[26:27], v[246:247], v[26:27]
	v_mul_f64_e32 v[246:247], s[38:39], v[206:207]
	s_delay_alu instid0(VALU_DEP_1) | instskip(NEXT) | instid1(VALU_DEP_1)
	v_fma_f64 v[248:249], v[226:227], s[52:53], v[246:247]
	v_add_f64_e32 v[24:25], v[248:249], v[24:25]
	v_fma_f64 v[248:249], v[200:201], s[38:39], -v[234:235]
	s_delay_alu instid0(VALU_DEP_1) | instskip(SKIP_1) | instid1(VALU_DEP_1)
	v_add_f64_e32 v[248:249], v[248:249], v[26:27]
	v_fma_f64 v[26:27], v[230:231], s[50:51], v[250:251]
	v_add_f64_e32 v[26:27], v[26:27], v[24:25]
	v_fma_f64 v[24:25], v[210:211], s[18:19], -v[236:237]
	s_delay_alu instid0(VALU_DEP_1)
	v_add_f64_e32 v[24:25], v[24:25], v[248:249]
	scratch_load_b64 v[248:249], off, off offset:836 th:TH_LOAD_LU ; 8-byte Folded Reload
	s_wait_loadcnt 0x0
	v_add_f64_e32 v[202:203], v[202:203], v[248:249]
	scratch_load_b64 v[248:249], off, off offset:828 th:TH_LOAD_LU ; 8-byte Folded Reload
	v_add_f64_e32 v[202:203], v[208:209], v[202:203]
	v_fma_f64 v[208:209], v[150:151], s[14:15], v[212:213]
	v_fma_f64 v[212:213], v[210:211], s[18:19], v[236:237]
	s_wait_loadcnt 0x0
	v_add_f64_e32 v[204:205], v[204:205], v[248:249]
	s_delay_alu instid0(VALU_DEP_1) | instskip(SKIP_1) | instid1(VALU_DEP_1)
	v_add_f64_e32 v[204:205], v[208:209], v[204:205]
	v_fma_f64 v[208:209], v[182:183], s[42:43], v[216:217]
	v_add_f64_e32 v[202:203], v[208:209], v[202:203]
	v_fma_f64 v[208:209], v[162:163], s[36:37], v[218:219]
	s_delay_alu instid0(VALU_DEP_1) | instskip(SKIP_1) | instid1(VALU_DEP_1)
	v_add_f64_e32 v[204:205], v[208:209], v[204:205]
	v_fma_f64 v[208:209], v[214:215], s[26:27], v[222:223]
	v_add_f64_e32 v[202:203], v[208:209], v[202:203]
	v_fma_f64 v[208:209], v[178:179], s[22:23], v[228:229]
	;; [unrolled: 5-line block ×4, first 2 shown]
	s_delay_alu instid0(VALU_DEP_1) | instskip(SKIP_1) | instid1(VALU_DEP_1)
	v_add_f64_e32 v[208:209], v[208:209], v[204:205]
	v_fma_f64 v[204:205], v[230:231], s[28:29], v[250:251]
	v_add_f64_e32 v[204:205], v[204:205], v[202:203]
	s_delay_alu instid0(VALU_DEP_3) | instskip(SKIP_3) | instid1(VALU_DEP_1)
	v_add_f64_e32 v[202:203], v[212:213], v[208:209]
	scratch_load_b64 v[208:209], off, off offset:820 th:TH_LOAD_LU ; 8-byte Folded Reload
	s_wait_loadcnt 0x0
	v_add_f64_e32 v[136:137], v[136:137], v[208:209]
	v_add_f64_e32 v[136:137], v[140:141], v[136:137]
	v_fma_f64 v[140:141], v[150:151], s[10:11], v[144:145]
	s_delay_alu instid0(VALU_DEP_1) | instskip(SKIP_2) | instid1(VALU_DEP_2)
	v_add_f64_e32 v[138:139], v[140:141], v[138:139]
	v_fma_f64 v[140:141], v[182:183], s[50:51], v[142:143]
	v_fma_f64 v[142:143], v[210:211], s[30:31], v[198:199]
	v_add_f64_e32 v[136:137], v[140:141], v[136:137]
	v_fma_f64 v[140:141], v[162:163], s[18:19], v[148:149]
	s_delay_alu instid0(VALU_DEP_1) | instskip(SKIP_1) | instid1(VALU_DEP_1)
	v_add_f64_e32 v[138:139], v[140:141], v[138:139]
	v_fma_f64 v[140:141], v[214:215], s[44:45], v[160:161]
	v_add_f64_e32 v[136:137], v[140:141], v[136:137]
	v_fma_f64 v[140:141], v[178:179], s[38:39], v[164:165]
	s_delay_alu instid0(VALU_DEP_1) | instskip(SKIP_1) | instid1(VALU_DEP_1)
	v_add_f64_e32 v[138:139], v[140:141], v[138:139]
	;; [unrolled: 5-line block ×3, first 2 shown]
	v_fma_f64 v[140:141], v[226:227], s[54:55], v[180:181]
	v_add_f64_e32 v[136:137], v[140:141], v[136:137]
	v_fma_f64 v[140:141], v[200:201], s[14:15], v[190:191]
	s_delay_alu instid0(VALU_DEP_1) | instskip(SKIP_1) | instid1(VALU_DEP_2)
	v_add_f64_e32 v[138:139], v[140:141], v[138:139]
	v_fma_f64 v[140:141], v[230:231], s[58:59], v[194:195]
	v_add_f64_e32 v[216:217], v[142:143], v[138:139]
	v_mov_b32_e32 v142, v67
	scratch_load_b64 v[66:67], off, off offset:812 th:TH_LOAD_LU ; 8-byte Folded Reload
	v_add_f64_e32 v[218:219], v[140:141], v[136:137]
	v_mov_b32_e32 v140, v64
	s_wait_loadcnt 0x0
	v_add_f64_e32 v[28:29], v[28:29], v[66:67]
	s_delay_alu instid0(VALU_DEP_1)
	v_add_f64_e32 v[28:29], v[36:37], v[28:29]
	v_fma_f64 v[36:37], v[182:183], s[20:21], v[46:47]
	scratch_load_b64 v[46:47], off, off offset:516 th:TH_LOAD_LU ; 8-byte Folded Reload
	v_add_f64_e32 v[28:29], v[36:37], v[28:29]
	scratch_load_b64 v[36:37], off, off offset:804 th:TH_LOAD_LU ; 8-byte Folded Reload
	s_wait_loadcnt 0x0
	v_add_f64_e32 v[34:35], v[34:35], v[36:37]
	v_fma_f64 v[36:37], v[150:151], s[24:25], v[44:45]
	v_fma_f64 v[44:45], v[162:163], s[14:15], v[48:49]
	scratch_load_b64 v[48:49], off, off offset:572 th:TH_LOAD_LU ; 8-byte Folded Reload
	v_add_f64_e32 v[34:35], v[36:37], v[34:35]
	v_fma_f64 v[36:37], v[214:215], s[50:51], v[50:51]
	s_delay_alu instid0(VALU_DEP_2) | instskip(SKIP_1) | instid1(VALU_DEP_3)
	v_add_f64_e32 v[34:35], v[44:45], v[34:35]
	v_fma_f64 v[44:45], v[224:225], s[42:43], v[56:57]
	v_add_f64_e32 v[28:29], v[36:37], v[28:29]
	v_fma_f64 v[36:37], v[178:179], s[18:19], v[54:55]
	s_delay_alu instid0(VALU_DEP_2) | instskip(NEXT) | instid1(VALU_DEP_2)
	v_add_f64_e32 v[28:29], v[44:45], v[28:29]
	v_add_f64_e32 v[34:35], v[36:37], v[34:35]
	v_fma_f64 v[36:37], v[226:227], s[40:41], v[60:61]
	v_fma_f64 v[44:45], v[188:189], s[36:37], v[58:59]
	s_delay_alu instid0(VALU_DEP_2) | instskip(NEXT) | instid1(VALU_DEP_2)
	v_add_f64_e32 v[28:29], v[36:37], v[28:29]
	v_add_f64_e32 v[34:35], v[44:45], v[34:35]
	v_fma_f64 v[36:37], v[200:201], s[30:31], v[62:63]
	v_fma_f64 v[44:45], v[230:231], s[12:13], v[132:133]
	s_delay_alu instid0(VALU_DEP_2) | instskip(SKIP_1) | instid1(VALU_DEP_3)
	v_add_f64_e32 v[34:35], v[36:37], v[34:35]
	v_fma_f64 v[36:37], v[210:211], s[10:11], v[134:135]
	v_add_f64_e32 v[170:171], v[44:45], v[28:29]
	scratch_load_b64 v[44:45], off, off offset:548 th:TH_LOAD_LU ; 8-byte Folded Reload
	v_mul_f64_e32 v[28:29], s[10:11], v[146:147]
	v_add_f64_e32 v[168:169], v[36:37], v[34:35]
	s_clause 0x1
	scratch_load_b64 v[34:35], off, off offset:500 th:TH_LOAD_LU
	scratch_load_b64 v[36:37], off, off offset:492 th:TH_LOAD_LU
	s_wait_loadcnt 0x1
	v_add_f64_e32 v[28:29], v[34:35], v[28:29]
	v_mul_f64_e32 v[34:35], s[10:11], v[126:127]
	s_delay_alu instid0(VALU_DEP_2) | instskip(SKIP_1) | instid1(VALU_DEP_2)
	v_add_f64_e32 v[28:29], v[28:29], v[106:107]
	s_wait_loadcnt 0x0
	v_add_f64_e64 v[34:35], v[34:35], -v[36:37]
	v_mul_f64_e32 v[36:37], s[18:19], v[166:167]
	s_delay_alu instid0(VALU_DEP_2) | instskip(NEXT) | instid1(VALU_DEP_2)
	v_add_f64_e32 v[34:35], v[34:35], v[104:105]
	v_add_f64_e32 v[36:37], v[44:45], v[36:37]
	v_mul_f64_e32 v[44:45], s[18:19], v[150:151]
	s_delay_alu instid0(VALU_DEP_2) | instskip(NEXT) | instid1(VALU_DEP_2)
	v_add_f64_e32 v[28:29], v[36:37], v[28:29]
	v_add_f64_e64 v[44:45], v[44:45], -v[46:47]
	v_mul_f64_e32 v[46:47], s[22:23], v[174:175]
	v_mul_f64_e32 v[36:37], s[22:23], v[162:163]
	s_delay_alu instid0(VALU_DEP_3) | instskip(NEXT) | instid1(VALU_DEP_3)
	v_add_f64_e32 v[34:35], v[44:45], v[34:35]
	v_add_f64_e32 v[46:47], v[48:49], v[46:47]
	scratch_load_b64 v[48:49], off, off offset:532 th:TH_LOAD_LU ; 8-byte Folded Reload
	v_mul_f64_e32 v[44:45], s[24:25], v[192:193]
	v_add_f64_e32 v[28:29], v[46:47], v[28:29]
	v_mul_f64_e32 v[46:47], s[24:25], v[178:179]
	s_wait_loadcnt 0x0
	v_add_f64_e64 v[36:37], v[36:37], -v[48:49]
	scratch_load_b64 v[48:49], off, off offset:596 th:TH_LOAD_LU ; 8-byte Folded Reload
	v_add_f64_e32 v[34:35], v[36:37], v[34:35]
	v_mul_f64_e32 v[36:37], s[30:31], v[196:197]
	s_wait_loadcnt 0x0
	v_add_f64_e32 v[44:45], v[48:49], v[44:45]
	scratch_load_b64 v[48:49], off, off offset:580 th:TH_LOAD_LU ; 8-byte Folded Reload
	v_add_f64_e32 v[28:29], v[44:45], v[28:29]
	v_mul_f64_e32 v[44:45], s[30:31], v[188:189]
	s_wait_loadcnt 0x0
	v_add_f64_e64 v[46:47], v[46:47], -v[48:49]
	scratch_load_b64 v[48:49], off, off offset:604 th:TH_LOAD_LU ; 8-byte Folded Reload
	v_add_f64_e32 v[34:35], v[46:47], v[34:35]
	v_mul_f64_e32 v[46:47], s[36:37], v[206:207]
	s_wait_loadcnt 0x0
	v_add_f64_e32 v[36:37], v[48:49], v[36:37]
	scratch_load_b64 v[48:49], off, off offset:588 th:TH_LOAD_LU ; 8-byte Folded Reload
	;; [unrolled: 10-line block ×3, first 2 shown]
	v_add_f64_e32 v[28:29], v[46:47], v[28:29]
	v_mul_f64_e32 v[46:47], s[38:39], v[210:211]
	s_wait_loadcnt 0x0
	v_add_f64_e64 v[36:37], v[36:37], -v[48:49]
	scratch_load_b64 v[48:49], off, off offset:636 th:TH_LOAD_LU ; 8-byte Folded Reload
	v_add_f64_e32 v[34:35], v[36:37], v[34:35]
	s_wait_loadcnt 0x0
	v_add_f64_e32 v[44:45], v[48:49], v[44:45]
	scratch_load_b64 v[48:49], off, off offset:628 th:TH_LOAD_LU ; 8-byte Folded Reload
	v_add_f64_e32 v[106:107], v[44:45], v[28:29]
	s_wait_loadcnt 0x0
	v_add_f64_e64 v[46:47], v[46:47], -v[48:49]
	s_delay_alu instid0(VALU_DEP_1)
	v_add_f64_e32 v[104:105], v[46:47], v[34:35]
	s_clause 0x1
	scratch_load_b64 v[28:29], off, off offset:668 th:TH_LOAD_LU
	scratch_load_b64 v[34:35], off, off offset:788 th:TH_LOAD_LU
	s_wait_loadcnt 0x0
	v_add_f64_e32 v[28:29], v[34:35], v[28:29]
	s_clause 0x1
	scratch_load_b64 v[34:35], off, off offset:724 th:TH_LOAD_LU
	scratch_load_b64 v[36:37], off, off offset:796 th:TH_LOAD_LU
	s_wait_loadcnt 0x0
	v_add_f64_e32 v[34:35], v[36:37], v[34:35]
	scratch_load_b64 v[36:37], off, off offset:692 th:TH_LOAD_LU ; 8-byte Folded Reload
	s_wait_loadcnt 0x0
	v_add_f64_e32 v[28:29], v[28:29], v[36:37]
	scratch_load_b64 v[36:37], off, off offset:652 th:TH_LOAD_LU ; 8-byte Folded Reload
	;; [unrolled: 3-line block ×3, first 2 shown]
	v_add_f64_e32 v[34:35], v[34:35], v[92:93]
	s_wait_loadcnt 0x0
	v_add_f64_e32 v[28:29], v[28:29], v[36:37]
	scratch_load_b64 v[36:37], off, off offset:364 th:TH_LOAD_LU ; 8-byte Folded Reload
	s_wait_loadcnt 0x0
	v_add_f64_e32 v[28:29], v[28:29], v[36:37]
	scratch_load_b64 v[36:37], off, off offset:348 th:TH_LOAD_LU ; 8-byte Folded Reload
	;; [unrolled: 3-line block ×6, first 2 shown]
	v_add_f64_e32 v[28:29], v[28:29], v[130:131]
	s_delay_alu instid0(VALU_DEP_1) | instskip(SKIP_4) | instid1(VALU_DEP_1)
	v_add_f64_e32 v[28:29], v[28:29], v[124:125]
	s_wait_loadcnt 0x0
	v_add_f64_e32 v[34:35], v[34:35], v[36:37]
	scratch_load_b64 v[36:37], off, off offset:780 th:TH_LOAD_LU ; 8-byte Folded Reload
	v_add_f64_e32 v[34:35], v[34:35], v[94:95]
	v_add_f64_e32 v[34:35], v[34:35], v[128:129]
	s_wait_loadcnt 0x0
	v_add_f64_e32 v[28:29], v[28:29], v[36:37]
	scratch_load_b64 v[36:37], off, off offset:444 th:TH_LOAD_LU ; 8-byte Folded Reload
	s_wait_loadcnt 0x0
	v_add_f64_e32 v[34:35], v[34:35], v[36:37]
	scratch_load_b64 v[36:37], off, off offset:764 th:TH_LOAD_LU ; 8-byte Folded Reload
	;; [unrolled: 3-line block ×7, first 2 shown]
	v_add_f64_e32 v[28:29], v[28:29], v[90:91]
	s_wait_loadcnt 0x0
	v_add_f64_e32 v[34:35], v[34:35], v[36:37]
	scratch_load_b64 v[36:37], off, off offset:700 th:TH_LOAD_LU ; 8-byte Folded Reload
	v_add_f64_e32 v[34:35], v[34:35], v[88:89]
	s_wait_loadcnt 0x0
	v_add_f64_e32 v[28:29], v[28:29], v[36:37]
	scratch_load_b64 v[36:37], off, off offset:708 th:TH_LOAD_LU ; 8-byte Folded Reload
	s_wait_loadcnt 0x0
	v_add_f64_e32 v[34:35], v[34:35], v[36:37]
	scratch_load_b64 v[36:37], off, off offset:716 th:TH_LOAD_LU ; 8-byte Folded Reload
	;; [unrolled: 3-line block ×3, first 2 shown]
	s_wait_loadcnt 0x0
	v_add_f64_e32 v[34:35], v[34:35], v[28:29]
	v_lshrrev_b32_e32 v28, 1, v52
	s_delay_alu instid0(VALU_DEP_1) | instskip(NEXT) | instid1(VALU_DEP_1)
	v_mul_u32_u24_e32 v28, 34, v28
	v_or_b32_e32 v28, v28, v65
	s_delay_alu instid0(VALU_DEP_1)
	v_lshl_add_u32 v28, v28, 4, v140
	ds_store_b128 v28, v[238:241] offset:64
	ds_store_b128 v28, v[152:155] offset:448
	;; [unrolled: 1-line block ×15, first 2 shown]
	ds_store_b128 v28, v[34:37]
	ds_store_b128 v28, v[184:187] offset:512
.LBB0_11:
	s_wait_alu 0xfffe
	s_or_b32 exec_lo, exec_lo, s1
	global_wb scope:SCOPE_SE
	s_wait_storecnt_dscnt 0x0
	s_barrier_signal -1
	s_barrier_wait -1
	global_inv scope:SCOPE_SE
	ds_load_b128 v[0:3], v53
	ds_load_b128 v[176:179], v53 offset:1088
	ds_load_b128 v[24:27], v53 offset:9248
	;; [unrolled: 1-line block ×13, first 2 shown]
	v_lshlrev_b32_e32 v32, 1, v52
	s_mov_b32 s1, exec_lo
	v_mov_b32_e32 v226, v52
	s_wait_alu 0xfffe
	s_and_b32 s10, s1, vcc_lo
	s_wait_alu 0xfffe
	s_mov_b32 exec_lo, s10
	s_cbranch_execz .LBB0_13
; %bb.12:
	ds_load_b128 v[152:155], v53 offset:7616
	ds_load_b128 v[156:159], v53 offset:15776
.LBB0_13:
	s_or_b32 exec_lo, exec_lo, s1
	v_add_co_u32 v33, s1, 0xffffffde, v226
	s_wait_alu 0xf1ff
	v_add_co_ci_u32_e64 v34, null, 0, -1, s1
	s_delay_alu instid0(VALU_DEP_2) | instskip(NEXT) | instid1(VALU_DEP_2)
	v_dual_cndmask_b32 v54, v33, v226 :: v_dual_and_b32 v35, 0xff, v40
	v_cndmask_b32_e64 v55, v34, 0, vcc_lo
	s_delay_alu instid0(VALU_DEP_2) | instskip(NEXT) | instid1(VALU_DEP_2)
	v_mul_lo_u16 v35, 0xf1, v35
	v_lshlrev_b64_e32 v[33:34], 4, v[54:55]
	s_delay_alu instid0(VALU_DEP_2) | instskip(NEXT) | instid1(VALU_DEP_2)
	v_lshrrev_b16 v51, 13, v35
	v_add_co_u32 v33, s1, s2, v33
	s_delay_alu instid0(VALU_DEP_2) | instskip(SKIP_1) | instid1(VALU_DEP_4)
	v_mul_lo_u16 v35, v51, 34
	s_wait_alu 0xf1ff
	v_add_co_ci_u32_e64 v34, s1, s3, v34, s1
	v_cmp_lt_u16_e64 s1, 33, v226
	s_delay_alu instid0(VALU_DEP_3) | instskip(NEXT) | instid1(VALU_DEP_1)
	v_sub_nc_u16 v35, v40, v35
	v_and_b32_e32 v52, 0xff, v35
	s_delay_alu instid0(VALU_DEP_1)
	v_lshlrev_b32_e32 v35, 4, v52
	s_clause 0x1
	global_load_b128 v[134:137], v[33:34], off offset:512
	global_load_b128 v[44:47], v35, s[2:3] offset:512
	s_wait_loadcnt_dscnt 0x103
	v_mul_f64_e32 v[33:34], v[30:31], v[136:137]
	s_wait_loadcnt 0x0
	scratch_store_b128 off, v[44:47], off offset:532 ; 16-byte Folded Spill
	v_fma_f64 v[33:34], v[28:29], v[134:135], -v[33:34]
	v_mul_f64_e32 v[28:29], v[28:29], v[136:137]
	s_delay_alu instid0(VALU_DEP_1) | instskip(SKIP_1) | instid1(VALU_DEP_1)
	v_fma_f64 v[28:29], v[30:31], v[134:135], v[28:29]
	v_mul_f64_e32 v[30:31], v[26:27], v[46:47]
	v_fma_f64 v[30:31], v[24:25], v[44:45], -v[30:31]
	v_mul_f64_e32 v[24:25], v[24:25], v[46:47]
	s_delay_alu instid0(VALU_DEP_1) | instskip(SKIP_1) | instid1(VALU_DEP_1)
	v_fma_f64 v[26:27], v[26:27], v[44:45], v[24:25]
	v_and_b32_e32 v25, 0xff, v245
	v_mul_lo_u16 v24, 0xf1, v25
	s_delay_alu instid0(VALU_DEP_1) | instskip(SKIP_1) | instid1(VALU_DEP_2)
	v_lshrrev_b16 v63, 13, v24
	v_and_b32_e32 v24, 0xffff, v42
	v_mul_lo_u16 v35, v63, 34
	s_delay_alu instid0(VALU_DEP_2) | instskip(NEXT) | instid1(VALU_DEP_2)
	v_mul_u32_u24_e32 v24, 0xf0f1, v24
	v_sub_nc_u16 v35, v245, v35
	s_delay_alu instid0(VALU_DEP_2) | instskip(NEXT) | instid1(VALU_DEP_2)
	v_lshrrev_b32_e32 v64, 21, v24
	v_and_b32_e32 v66, 0xff, v35
	s_delay_alu instid0(VALU_DEP_2) | instskip(NEXT) | instid1(VALU_DEP_1)
	v_mul_lo_u16 v36, v64, 34
	v_sub_nc_u16 v65, v42, v36
	s_delay_alu instid0(VALU_DEP_3) | instskip(NEXT) | instid1(VALU_DEP_2)
	v_lshlrev_b32_e32 v36, 4, v66
	v_and_b32_e32 v35, 0xffff, v65
	s_delay_alu instid0(VALU_DEP_1)
	v_lshlrev_b32_e32 v35, 4, v35
	s_clause 0x1
	global_load_b128 v[148:151], v36, s[2:3] offset:512
	global_load_b128 v[144:147], v35, s[2:3] offset:512
	s_wait_loadcnt 0x1
	v_mul_f64_e32 v[35:36], v[22:23], v[150:151]
	s_delay_alu instid0(VALU_DEP_1) | instskip(SKIP_1) | instid1(VALU_DEP_1)
	v_fma_f64 v[35:36], v[20:21], v[148:149], -v[35:36]
	v_mul_f64_e32 v[20:21], v[20:21], v[150:151]
	v_fma_f64 v[20:21], v[22:23], v[148:149], v[20:21]
	s_wait_loadcnt 0x0
	v_mul_f64_e32 v[22:23], v[18:19], v[146:147]
	s_delay_alu instid0(VALU_DEP_1) | instskip(SKIP_1) | instid1(VALU_DEP_1)
	v_fma_f64 v[22:23], v[16:17], v[144:145], -v[22:23]
	v_mul_f64_e32 v[16:17], v[16:17], v[146:147]
	v_fma_f64 v[44:45], v[18:19], v[144:145], v[16:17]
	v_and_b32_e32 v16, 0xffff, v39
	v_add_f64_e64 v[19:20], v[182:183], -v[20:21]
	s_wait_alu 0xf1ff
	v_cndmask_b32_e64 v21, 0, 0x44, s1
	s_delay_alu instid0(VALU_DEP_3) | instskip(NEXT) | instid1(VALU_DEP_2)
	v_mul_u32_u24_e32 v16, 0xf0f1, v16
	v_add_nc_u32_e32 v21, v54, v21
	s_delay_alu instid0(VALU_DEP_2) | instskip(NEXT) | instid1(VALU_DEP_2)
	v_lshrrev_b32_e32 v67, 21, v16
	v_lshl_add_u32 v188, v21, 4, v140
	s_delay_alu instid0(VALU_DEP_2) | instskip(NEXT) | instid1(VALU_DEP_1)
	v_mul_lo_u16 v16, v67, 34
	v_sub_nc_u16 v39, v39, v16
	v_and_b32_e32 v16, 0xffff, v41
	s_delay_alu instid0(VALU_DEP_2) | instskip(NEXT) | instid1(VALU_DEP_2)
	v_and_b32_e32 v18, 0xffff, v39
	v_mul_u32_u24_e32 v16, 0xf0f1, v16
	s_delay_alu instid0(VALU_DEP_2) | instskip(NEXT) | instid1(VALU_DEP_2)
	v_lshlrev_b32_e32 v18, 4, v18
	v_lshrrev_b32_e32 v106, 21, v16
	s_delay_alu instid0(VALU_DEP_1) | instskip(NEXT) | instid1(VALU_DEP_1)
	v_mul_lo_u16 v17, v106, 34
	v_sub_nc_u16 v107, v41, v17
	s_delay_alu instid0(VALU_DEP_1) | instskip(NEXT) | instid1(VALU_DEP_1)
	v_and_b32_e32 v17, 0xffff, v107
	v_lshlrev_b32_e32 v17, 4, v17
	s_clause 0x1
	global_load_b128 v[55:58], v17, s[2:3] offset:512
	global_load_b128 v[59:62], v18, s[2:3] offset:512
	s_wait_loadcnt 0x1
	v_mul_f64_e32 v[17:18], v[10:11], v[57:58]
	scratch_store_b128 off, v[55:58], off offset:500 ; 16-byte Folded Spill
	s_wait_loadcnt 0x0
	scratch_store_b128 off, v[59:62], off offset:516 ; 16-byte Folded Spill
	v_fma_f64 v[47:48], v[8:9], v[55:56], -v[17:18]
	v_mul_f64_e32 v[8:9], v[8:9], v[57:58]
	v_add_f64_e64 v[17:18], v[180:181], -v[35:36]
	v_add_f64_e64 v[35:36], v[170:171], -v[44:45]
	s_delay_alu instid0(VALU_DEP_4) | instskip(NEXT) | instid1(VALU_DEP_4)
	v_add_f64_e64 v[47:48], v[172:173], -v[47:48]
	v_fma_f64 v[49:50], v[10:11], v[55:56], v[8:9]
	s_wait_dscnt 0x1
	v_mul_f64_e32 v[8:9], v[14:15], v[61:62]
	s_delay_alu instid0(VALU_DEP_4) | instskip(NEXT) | instid1(VALU_DEP_3)
	v_fma_f64 v[45:46], v[170:171], 2.0, -v[35:36]
	v_add_f64_e64 v[49:50], v[174:175], -v[49:50]
	s_delay_alu instid0(VALU_DEP_3) | instskip(SKIP_1) | instid1(VALU_DEP_1)
	v_fma_f64 v[55:56], v[12:13], v[59:60], -v[8:9]
	v_mul_f64_e32 v[8:9], v[12:13], v[61:62]
	v_fma_f64 v[57:58], v[14:15], v[59:60], v[8:9]
	v_and_b32_e32 v8, 0xffff, v38
	v_and_b32_e32 v9, 0xffff, v43
	s_delay_alu instid0(VALU_DEP_2) | instskip(NEXT) | instid1(VALU_DEP_2)
	v_mul_u32_u24_e32 v8, 0xf0f1, v8
	v_mul_u32_u24_e32 v9, 0xf0f1, v9
	s_delay_alu instid0(VALU_DEP_2) | instskip(NEXT) | instid1(VALU_DEP_2)
	v_lshrrev_b32_e32 v8, 21, v8
	v_lshrrev_b32_e32 v124, 21, v9
	s_delay_alu instid0(VALU_DEP_2) | instskip(NEXT) | instid1(VALU_DEP_2)
	v_mul_lo_u16 v8, v8, 34
	v_mul_lo_u16 v9, v124, 34
	s_delay_alu instid0(VALU_DEP_2) | instskip(NEXT) | instid1(VALU_DEP_2)
	v_sub_nc_u16 v8, v38, v8
	v_sub_nc_u16 v125, v43, v9
	s_delay_alu instid0(VALU_DEP_2) | instskip(NEXT) | instid1(VALU_DEP_2)
	v_and_b32_e32 v235, 0xffff, v8
	v_and_b32_e32 v8, 0xffff, v125
	s_delay_alu instid0(VALU_DEP_2) | instskip(NEXT) | instid1(VALU_DEP_2)
	v_lshlrev_b32_e32 v9, 4, v235
	v_lshlrev_b32_e32 v8, 4, v8
	s_clause 0x1
	global_load_b128 v[90:93], v8, s[2:3] offset:512
	global_load_b128 v[10:13], v9, s[2:3] offset:512
	v_add_f64_e64 v[170:171], v[166:167], -v[57:58]
	s_delay_alu instid0(VALU_DEP_1)
	v_fma_f64 v[166:167], v[166:167], 2.0, -v[170:171]
	s_wait_loadcnt_dscnt 0x100
	v_mul_f64_e32 v[8:9], v[6:7], v[92:93]
	s_wait_loadcnt 0x0
	scratch_store_b128 off, v[10:13], off offset:548 ; 16-byte Folded Spill
	global_wb scope:SCOPE_SE
	s_wait_storecnt 0x0
	s_barrier_signal -1
	s_barrier_wait -1
	global_inv scope:SCOPE_SE
	v_fma_f64 v[37:38], v[4:5], v[90:91], -v[8:9]
	v_mul_f64_e32 v[4:5], v[4:5], v[92:93]
	v_add_f64_e64 v[8:9], v[176:177], -v[30:31]
	s_delay_alu instid0(VALU_DEP_2) | instskip(SKIP_3) | instid1(VALU_DEP_3)
	v_fma_f64 v[59:60], v[6:7], v[90:91], v[4:5]
	v_mul_f64_e32 v[4:5], v[158:159], v[12:13]
	v_add_f64_e64 v[6:7], v[2:3], -v[28:29]
	v_fma_f64 v[28:29], v[182:183], 2.0, -v[19:20]
	v_fma_f64 v[61:62], v[156:157], v[10:11], -v[4:5]
	v_mul_f64_e32 v[4:5], v[156:157], v[12:13]
	s_delay_alu instid0(VALU_DEP_4)
	v_fma_f64 v[2:3], v[2:3], 2.0, -v[6:7]
	v_fma_f64 v[156:157], v[172:173], 2.0, -v[47:48]
	v_add_f64_e64 v[172:173], v[160:161], -v[37:38]
	v_fma_f64 v[12:13], v[176:177], 2.0, -v[8:9]
	v_add_f64_e64 v[236:237], v[152:153], -v[61:62]
	v_fma_f64 v[104:105], v[158:159], v[10:11], v[4:5]
	v_add_f64_e64 v[4:5], v[0:1], -v[33:34]
	v_add_f64_e64 v[33:34], v[168:169], -v[22:23]
	;; [unrolled: 1-line block ×3, first 2 shown]
	v_fma_f64 v[158:159], v[174:175], 2.0, -v[49:50]
	v_add_f64_e64 v[174:175], v[162:163], -v[59:60]
	v_fma_f64 v[26:27], v[180:181], 2.0, -v[17:18]
	v_fma_f64 v[160:161], v[160:161], 2.0, -v[172:173]
	v_add_f64_e64 v[238:239], v[154:155], -v[104:105]
	v_fma_f64 v[0:1], v[0:1], 2.0, -v[4:5]
	;; [unrolled: 3-line block ×3, first 2 shown]
	v_fma_f64 v[162:163], v[162:163], 2.0, -v[174:175]
	ds_store_b128 v188, v[4:7] offset:544
	ds_store_b128 v188, v[0:3]
	v_and_b32_e32 v0, 0xffff, v51
	v_fma_f64 v[164:165], v[164:165], 2.0, -v[168:169]
	s_delay_alu instid0(VALU_DEP_2) | instskip(NEXT) | instid1(VALU_DEP_1)
	v_mul_u32_u24_e32 v0, 0x44, v0
	v_add_nc_u32_e32 v0, v0, v52
	s_delay_alu instid0(VALU_DEP_1) | instskip(SKIP_4) | instid1(VALU_DEP_1)
	v_lshl_add_u32 v179, v0, 4, v140
	v_and_b32_e32 v0, 0xffff, v63
	ds_store_b128 v179, v[8:11] offset:544
	ds_store_b128 v179, v[12:15]
	v_mul_u32_u24_e32 v0, 0x44, v0
	v_add_nc_u32_e32 v0, v0, v66
	s_delay_alu instid0(VALU_DEP_1) | instskip(SKIP_4) | instid1(VALU_DEP_1)
	v_lshl_add_u32 v177, v0, 4, v140
	v_mad_u16 v0, 0x44, v64, v65
	ds_store_b128 v177, v[26:29]
	ds_store_b128 v177, v[17:20] offset:544
	v_and_b32_e32 v0, 0xffff, v0
	v_lshl_add_u32 v0, v0, 4, v140
	ds_store_b128 v0, v[43:46]
	ds_store_b128 v0, v[33:36] offset:544
	scratch_store_b32 off, v0, off offset:340 ; 4-byte Folded Spill
	v_mad_u16 v0, 0x44, v106, v107
	s_delay_alu instid0(VALU_DEP_1) | instskip(NEXT) | instid1(VALU_DEP_1)
	v_and_b32_e32 v0, 0xffff, v0
	v_lshl_add_u32 v176, v0, 4, v140
	v_mad_u16 v0, 0x44, v67, v39
	ds_store_b128 v176, v[156:159]
	ds_store_b128 v176, v[47:50] offset:544
	v_and_b32_e32 v0, 0xffff, v0
	s_delay_alu instid0(VALU_DEP_1) | instskip(SKIP_4) | instid1(VALU_DEP_1)
	v_lshl_add_u32 v180, v0, 4, v140
	v_mad_u16 v0, 0x44, v124, v125
	ds_store_b128 v180, v[164:167]
	ds_store_b128 v180, v[168:171] offset:544
	v_and_b32_e32 v0, 0xffff, v0
	v_lshl_add_u32 v0, v0, 4, v140
	ds_store_b128 v0, v[160:163]
	ds_store_b128 v0, v[172:175] offset:544
	scratch_store_b32 off, v0, off offset:492 ; 4-byte Folded Spill
	s_and_saveexec_b32 s1, vcc_lo
	s_cbranch_execz .LBB0_15
; %bb.14:
	v_fma_f64 v[2:3], v[154:155], 2.0, -v[238:239]
	v_fma_f64 v[0:1], v[152:153], 2.0, -v[236:237]
	v_lshl_add_u32 v4, v235, 4, v140
	ds_store_b128 v4, v[0:3] offset:15232
	ds_store_b128 v4, v[236:239] offset:15776
.LBB0_15:
	s_wait_alu 0xfffe
	s_or_b32 exec_lo, exec_lo, s1
	v_lshlrev_b32_e32 v0, 4, v32
	global_wb scope:SCOPE_SE
	s_wait_storecnt_dscnt 0x0
	s_barrier_signal -1
	s_barrier_wait -1
	global_inv scope:SCOPE_SE
	s_clause 0x1
	global_load_b128 v[156:159], v0, s[2:3] offset:1056
	global_load_b128 v[152:155], v0, s[2:3] offset:1072
	v_mul_lo_u16 v0, 0x79, v25
	v_lshrrev_b32_e32 v15, 22, v24
	s_mov_b32 s10, 0xe8584caa
	s_mov_b32 s11, 0x3febb67a
	;; [unrolled: 1-line block ×3, first 2 shown]
	v_lshrrev_b16 v0, 13, v0
	v_mul_lo_u16 v15, 0x44, v15
	s_wait_alu 0xfffe
	s_mov_b32 s12, s10
	s_mov_b32 s15, 0xbfee6f0e
	;; [unrolled: 1-line block ×3, first 2 shown]
	v_mul_lo_u16 v0, 0x44, v0
	v_sub_nc_u16 v39, v42, v15
	s_mov_b32 s19, 0x3fd3c6ef
	s_delay_alu instid0(VALU_DEP_2) | instskip(NEXT) | instid1(VALU_DEP_2)
	v_sub_nc_u16 v0, v245, v0
	v_lshlrev_b16 v15, 5, v39
	s_delay_alu instid0(VALU_DEP_2) | instskip(NEXT) | instid1(VALU_DEP_2)
	v_and_b32_e32 v0, 0xff, v0
	v_and_b32_e32 v15, 0xffff, v15
	s_delay_alu instid0(VALU_DEP_2)
	v_lshlrev_b32_e32 v1, 5, v0
	v_lshl_add_u32 v138, v0, 4, v140
	v_and_b32_e32 v0, 0xffff, v39
	s_clause 0x1
	global_load_b128 v[164:167], v1, s[2:3] offset:1056
	global_load_b128 v[160:163], v1, s[2:3] offset:1072
	ds_load_b128 v[1:4], v53 offset:5440
	ds_load_b128 v[5:8], v53 offset:10880
	;; [unrolled: 1-line block ×6, first 2 shown]
	v_lshl_add_u32 v143, v0, 4, v140
	s_wait_loadcnt_dscnt 0x305
	v_mul_f64_e32 v[13:14], v[3:4], v[158:159]
	v_mul_f64_e32 v[29:30], v[1:2], v[158:159]
	s_wait_loadcnt_dscnt 0x202
	v_mul_f64_e32 v[42:43], v[19:20], v[154:155]
	v_mul_f64_e32 v[31:32], v[7:8], v[154:155]
	;; [unrolled: 1-line block ×6, first 2 shown]
	v_fma_f64 v[13:14], v[1:2], v[156:157], -v[13:14]
	v_fma_f64 v[29:30], v[3:4], v[156:157], v[29:30]
	ds_load_b128 v[1:4], v53 offset:13056
	s_wait_loadcnt_dscnt 0x101
	v_mul_f64_e32 v[46:47], v[23:24], v[166:167]
	v_mul_f64_e32 v[48:49], v[21:22], v[166:167]
	v_fma_f64 v[17:18], v[17:18], v[152:153], -v[42:43]
	v_fma_f64 v[31:32], v[5:6], v[152:153], -v[31:32]
	v_fma_f64 v[33:34], v[7:8], v[152:153], v[33:34]
	ds_load_b128 v[5:8], v53 offset:14144
	v_fma_f64 v[35:36], v[9:10], v[156:157], -v[35:36]
	v_fma_f64 v[37:38], v[11:12], v[156:157], v[37:38]
	v_fma_f64 v[19:20], v[19:20], v[152:153], v[44:45]
	s_wait_loadcnt_dscnt 0x1
	v_mul_f64_e32 v[9:10], v[3:4], v[162:163]
	v_mul_f64_e32 v[11:12], v[1:2], v[162:163]
	v_fma_f64 v[42:43], v[21:22], v[164:165], -v[46:47]
	v_add_co_u32 v21, s1, s2, v15
	s_wait_alu 0xf1ff
	v_add_co_ci_u32_e64 v22, null, s3, 0, s1
	s_clause 0x1
	global_load_b128 v[212:215], v[21:22], off offset:1056
	global_load_b128 v[216:219], v[21:22], off offset:1072
	v_fma_f64 v[44:45], v[23:24], v[164:165], v[48:49]
	v_add_f64_e64 v[23:24], v[13:14], -v[31:32]
	v_fma_f64 v[46:47], v[1:2], v[160:161], -v[9:10]
	v_fma_f64 v[48:49], v[3:4], v[160:161], v[11:12]
	ds_load_b128 v[1:4], v53 offset:8704
	ds_load_b128 v[9:12], v53 offset:9792
	v_add_f64_e32 v[168:169], v[44:45], v[48:49]
	s_wait_loadcnt_dscnt 0x101
	v_mul_f64_e32 v[21:22], v[3:4], v[214:215]
	s_delay_alu instid0(VALU_DEP_1) | instskip(SKIP_2) | instid1(VALU_DEP_2)
	v_fma_f64 v[50:51], v[1:2], v[212:213], -v[21:22]
	v_mul_f64_e32 v[1:2], v[1:2], v[214:215]
	v_add_f64_e64 v[21:22], v[29:30], -v[33:34]
	v_fma_f64 v[54:55], v[3:4], v[212:213], v[1:2]
	s_wait_loadcnt 0x0
	v_mul_f64_e32 v[1:2], v[7:8], v[218:219]
	s_delay_alu instid0(VALU_DEP_1) | instskip(SKIP_1) | instid1(VALU_DEP_1)
	v_fma_f64 v[56:57], v[5:6], v[216:217], -v[1:2]
	v_mul_f64_e32 v[1:2], v[5:6], v[218:219]
	v_fma_f64 v[58:59], v[7:8], v[216:217], v[1:2]
	v_lshrrev_b32_e32 v1, 22, v16
	s_delay_alu instid0(VALU_DEP_1) | instskip(NEXT) | instid1(VALU_DEP_1)
	v_mul_lo_u16 v1, 0x44, v1
	v_sub_nc_u16 v52, v41, v1
	s_delay_alu instid0(VALU_DEP_1) | instskip(SKIP_1) | instid1(VALU_DEP_2)
	v_lshlrev_b16 v1, 5, v52
	v_and_b32_e32 v0, 0xffff, v52
	v_and_b32_e32 v1, 0xffff, v1
	s_delay_alu instid0(VALU_DEP_2) | instskip(NEXT) | instid1(VALU_DEP_2)
	v_lshl_add_u32 v139, v0, 4, v140
	v_add_co_u32 v1, s1, s2, v1
	s_wait_alu 0xf1ff
	v_add_co_ci_u32_e64 v2, null, s3, 0, s1
	s_clause 0x1
	global_load_b128 v[222:225], v[1:2], off offset:1056
	global_load_b128 v[231:234], v[1:2], off offset:1072
	s_wait_loadcnt_dscnt 0x100
	v_mul_f64_e32 v[1:2], v[11:12], v[224:225]
	s_delay_alu instid0(VALU_DEP_1) | instskip(SKIP_2) | instid1(VALU_DEP_2)
	v_fma_f64 v[60:61], v[9:10], v[222:223], -v[1:2]
	v_mul_f64_e32 v[1:2], v[9:10], v[224:225]
	v_add_f64_e32 v[9:10], v[13:14], v[31:32]
	v_fma_f64 v[62:63], v[11:12], v[222:223], v[1:2]
	ds_load_b128 v[1:4], v53 offset:15232
	s_wait_loadcnt_dscnt 0x0
	v_mul_f64_e32 v[5:6], v[3:4], v[233:234]
	s_delay_alu instid0(VALU_DEP_1) | instskip(SKIP_1) | instid1(VALU_DEP_1)
	v_fma_f64 v[104:105], v[1:2], v[231:232], -v[5:6]
	v_mul_f64_e32 v[1:2], v[1:2], v[233:234]
	v_fma_f64 v[106:107], v[3:4], v[231:232], v[1:2]
	ds_load_b128 v[1:4], v53
	ds_load_b128 v[5:8], v53 offset:1088
	s_wait_dscnt 0x1
	v_fma_f64 v[11:12], v[9:10], -0.5, v[1:2]
	v_add_f64_e32 v[9:10], v[29:30], v[33:34]
	v_add_f64_e32 v[1:2], v[1:2], v[13:14]
	s_wait_alu 0xfffe
	s_delay_alu instid0(VALU_DEP_3) | instskip(NEXT) | instid1(VALU_DEP_3)
	v_fma_f64 v[13:14], v[21:22], s[12:13], v[11:12]
	v_fma_f64 v[15:16], v[9:10], -0.5, v[3:4]
	v_fma_f64 v[9:10], v[21:22], s[10:11], v[11:12]
	v_add_f64_e32 v[21:22], v[35:36], v[17:18]
	v_add_f64_e32 v[3:4], v[3:4], v[29:30]
	;; [unrolled: 1-line block ×3, first 2 shown]
	v_add_f64_e64 v[29:30], v[37:38], -v[19:20]
	v_add_f64_e64 v[31:32], v[35:36], -v[17:18]
	v_fma_f64 v[11:12], v[23:24], s[12:13], v[15:16]
	v_fma_f64 v[15:16], v[23:24], s[10:11], v[15:16]
	v_add_f64_e32 v[23:24], v[37:38], v[19:20]
	s_wait_dscnt 0x0
	v_fma_f64 v[21:22], v[21:22], -0.5, v[5:6]
	v_add_f64_e32 v[5:6], v[5:6], v[35:36]
	v_add_f64_e32 v[3:4], v[3:4], v[33:34]
	s_delay_alu instid0(VALU_DEP_4)
	v_fma_f64 v[23:24], v[23:24], -0.5, v[7:8]
	v_add_f64_e32 v[7:8], v[7:8], v[37:38]
	v_add_f64_e32 v[37:38], v[42:43], v[46:47]
	;; [unrolled: 1-line block ×3, first 2 shown]
	v_fma_f64 v[17:18], v[29:30], s[10:11], v[21:22]
	v_fma_f64 v[21:22], v[29:30], s[12:13], v[21:22]
	v_add_f64_e32 v[7:8], v[7:8], v[19:20]
	v_fma_f64 v[19:20], v[31:32], s[12:13], v[23:24]
	v_fma_f64 v[23:24], v[31:32], s[10:11], v[23:24]
	ds_load_b128 v[29:32], v53 offset:2176
	ds_load_b128 v[33:36], v53 offset:3264
	global_wb scope:SCOPE_SE
	s_wait_dscnt 0x0
	s_barrier_signal -1
	s_barrier_wait -1
	global_inv scope:SCOPE_SE
	ds_store_b128 v53, v[1:4]
	ds_store_b128 v53, v[9:12] offset:1088
	ds_store_b128 v53, v[5:8] offset:3264
	;; [unrolled: 1-line block ×5, first 2 shown]
	v_fma_f64 v[37:38], v[37:38], -0.5, v[29:30]
	v_fma_f64 v[168:169], v[168:169], -0.5, v[31:32]
	v_add_f64_e32 v[31:32], v[31:32], v[44:45]
	v_add_f64_e32 v[29:30], v[29:30], v[42:43]
	v_add_f64_e64 v[44:45], v[44:45], -v[48:49]
	v_lshlrev_b32_e32 v4, 6, v226
	s_delay_alu instid0(VALU_DEP_4) | instskip(NEXT) | instid1(VALU_DEP_4)
	v_add_f64_e32 v[31:32], v[31:32], v[48:49]
	v_add_f64_e32 v[29:30], v[29:30], v[46:47]
	v_add_f64_e64 v[47:48], v[42:43], -v[46:47]
	v_fma_f64 v[41:42], v[44:45], s[10:11], v[37:38]
	v_fma_f64 v[45:46], v[44:45], s[12:13], v[37:38]
	v_add_f64_e32 v[37:38], v[50:51], v[56:57]
	s_delay_alu instid0(VALU_DEP_4) | instskip(SKIP_2) | instid1(VALU_DEP_4)
	v_fma_f64 v[43:44], v[47:48], s[12:13], v[168:169]
	v_fma_f64 v[47:48], v[47:48], s[10:11], v[168:169]
	v_add_f64_e32 v[168:169], v[54:55], v[58:59]
	v_fma_f64 v[37:38], v[37:38], -0.5, v[33:34]
	v_add_f64_e32 v[33:34], v[33:34], v[50:51]
	v_add_f64_e64 v[49:50], v[50:51], -v[56:57]
	ds_store_b128 v138, v[29:32] offset:6528
	ds_store_b128 v138, v[41:44] offset:7616
	v_fma_f64 v[174:175], v[168:169], -0.5, v[35:36]
	v_add_f64_e32 v[35:36], v[35:36], v[54:55]
	v_add_f64_e64 v[54:55], v[54:55], -v[58:59]
	v_add_f64_e32 v[33:34], v[33:34], v[56:57]
	v_add_f64_e64 v[56:57], v[60:61], -v[104:105]
	v_fma_f64 v[170:171], v[49:50], s[12:13], v[174:175]
	v_fma_f64 v[174:175], v[49:50], s[10:11], v[174:175]
	;; [unrolled: 1-line block ×4, first 2 shown]
	v_add_f64_e32 v[37:38], v[60:61], v[104:105]
	v_add_f64_e32 v[49:50], v[62:63], v[106:107]
	v_add_f64_e64 v[54:55], v[62:63], -v[106:107]
	v_add_f64_e32 v[35:36], v[35:36], v[58:59]
	s_delay_alu instid0(VALU_DEP_4) | instskip(NEXT) | instid1(VALU_DEP_4)
	v_fma_f64 v[37:38], v[37:38], -0.5, v[25:26]
	v_fma_f64 v[49:50], v[49:50], -0.5, v[27:28]
	v_add_f64_e32 v[27:28], v[27:28], v[62:63]
	v_add_f64_e32 v[25:26], v[25:26], v[60:61]
	ds_store_b128 v143, v[33:36] offset:9792
	v_fma_f64 v[196:197], v[54:55], s[10:11], v[37:38]
	v_fma_f64 v[198:199], v[56:57], s[12:13], v[49:50]
	v_add_f64_e32 v[27:28], v[27:28], v[106:107]
	v_add_f64_e32 v[25:26], v[25:26], v[104:105]
	v_fma_f64 v[200:201], v[54:55], s[12:13], v[37:38]
	v_fma_f64 v[202:203], v[56:57], s[10:11], v[49:50]
	ds_store_b128 v138, v[45:48] offset:8704
	ds_store_b128 v143, v[168:171] offset:10880
	;; [unrolled: 1-line block ×6, first 2 shown]
	global_wb scope:SCOPE_SE
	s_wait_dscnt 0x0
	s_barrier_signal -1
	s_barrier_wait -1
	global_inv scope:SCOPE_SE
	s_clause 0x1
	global_load_b128 v[172:175], v4, s[2:3] offset:3232
	global_load_b128 v[168:171], v4, s[2:3] offset:3248
	ds_load_b128 v[0:3], v53 offset:3264
	ds_load_b128 v[5:8], v53 offset:2176
	;; [unrolled: 1-line block ×3, first 2 shown]
	s_mov_b32 s12, 0x134454ff
	s_mov_b32 s13, 0x3fee6f0e
	s_wait_alu 0xfffe
	s_mov_b32 s14, s12
	s_mov_b32 s11, 0xbfe2cf23
	s_wait_loadcnt_dscnt 0x102
	v_mul_f64_e32 v[13:14], v[2:3], v[174:175]
	v_mul_f64_e32 v[15:16], v[0:1], v[174:175]
	s_delay_alu instid0(VALU_DEP_2) | instskip(NEXT) | instid1(VALU_DEP_2)
	v_fma_f64 v[25:26], v[0:1], v[172:173], -v[13:14]
	v_fma_f64 v[27:28], v[2:3], v[172:173], v[15:16]
	ds_load_b128 v[0:3], v53 offset:7616
	s_clause 0x1
	global_load_b128 v[197:200], v4, s[2:3] offset:3264
	global_load_b128 v[193:196], v4, s[2:3] offset:3280
	s_wait_loadcnt_dscnt 0x201
	v_mul_f64_e32 v[13:14], v[11:12], v[170:171]
	v_lshlrev_b32_e32 v4, 6, v40
	s_delay_alu instid0(VALU_DEP_2) | instskip(SKIP_1) | instid1(VALU_DEP_1)
	v_fma_f64 v[29:30], v[9:10], v[168:169], -v[13:14]
	v_mul_f64_e32 v[9:10], v[9:10], v[170:171]
	v_fma_f64 v[31:32], v[11:12], v[168:169], v[9:10]
	ds_load_b128 v[9:12], v53 offset:9792
	ds_load_b128 v[13:16], v53 offset:8704
	s_wait_loadcnt_dscnt 0x101
	v_mul_f64_e32 v[17:18], v[11:12], v[199:200]
	s_delay_alu instid0(VALU_DEP_1) | instskip(SKIP_1) | instid1(VALU_DEP_2)
	v_fma_f64 v[33:34], v[9:10], v[197:198], -v[17:18]
	v_mul_f64_e32 v[9:10], v[9:10], v[199:200]
	v_add_f64_e64 v[51:52], v[29:30], -v[33:34]
	s_delay_alu instid0(VALU_DEP_2)
	v_fma_f64 v[35:36], v[11:12], v[197:198], v[9:10]
	ds_load_b128 v[9:12], v53 offset:13056
	ds_load_b128 v[17:20], v53 offset:14144
	s_clause 0x1
	global_load_b128 v[43:46], v4, s[2:3] offset:3232
	global_load_b128 v[227:230], v4, s[2:3] offset:3248
	s_wait_loadcnt_dscnt 0x201
	v_mul_f64_e32 v[21:22], v[11:12], v[195:196]
	v_add_f64_e64 v[247:248], v[31:32], -v[35:36]
	s_delay_alu instid0(VALU_DEP_2) | instskip(SKIP_1) | instid1(VALU_DEP_2)
	v_fma_f64 v[37:38], v[9:10], v[193:194], -v[21:22]
	v_mul_f64_e32 v[9:10], v[9:10], v[195:196]
	v_add_f64_e64 v[253:254], v[25:26], -v[37:38]
	s_delay_alu instid0(VALU_DEP_2)
	v_fma_f64 v[41:42], v[11:12], v[193:194], v[9:10]
	ds_load_b128 v[9:12], v53 offset:4352
	ds_load_b128 v[21:24], v53 offset:5440
	s_wait_loadcnt 0x1
	scratch_store_b128 off, v[43:46], off offset:348 ; 16-byte Folded Spill
	s_clause 0x1
	global_load_b128 v[54:57], v4, s[2:3] offset:3264
	global_load_b128 v[58:61], v4, s[2:3] offset:3280
	s_wait_dscnt 0x1
	v_mul_f64_e32 v[39:40], v[11:12], v[45:46]
	s_delay_alu instid0(VALU_DEP_1) | instskip(SKIP_1) | instid1(VALU_DEP_1)
	v_fma_f64 v[39:40], v[9:10], v[43:44], -v[39:40]
	v_mul_f64_e32 v[9:10], v[9:10], v[45:46]
	v_fma_f64 v[43:44], v[11:12], v[43:44], v[9:10]
	s_wait_loadcnt 0x2
	v_mul_f64_e32 v[9:10], v[2:3], v[229:230]
	s_delay_alu instid0(VALU_DEP_1) | instskip(SKIP_1) | instid1(VALU_DEP_1)
	v_fma_f64 v[45:46], v[0:1], v[227:228], -v[9:10]
	v_mul_f64_e32 v[0:1], v[0:1], v[229:230]
	v_fma_f64 v[47:48], v[2:3], v[227:228], v[0:1]
	ds_load_b128 v[0:3], v53 offset:10880
	ds_load_b128 v[9:12], v53 offset:11968
	s_wait_loadcnt_dscnt 0x101
	v_mul_f64_e32 v[49:50], v[2:3], v[56:57]
	scratch_store_b128 off, v[54:57], off offset:380 ; 16-byte Folded Spill
	s_wait_loadcnt 0x0
	scratch_store_b128 off, v[58:61], off offset:364 ; 16-byte Folded Spill
	v_fma_f64 v[49:50], v[0:1], v[54:55], -v[49:50]
	v_mul_f64_e32 v[0:1], v[0:1], v[56:57]
	s_delay_alu instid0(VALU_DEP_1) | instskip(SKIP_3) | instid1(VALU_DEP_3)
	v_fma_f64 v[54:55], v[2:3], v[54:55], v[0:1]
	v_mul_f64_e32 v[0:1], v[19:20], v[60:61]
	v_lshlrev_b32_e32 v2, 6, v245
	v_add_f64_e64 v[245:246], v[27:28], -v[41:42]
	v_fma_f64 v[56:57], v[17:18], v[58:59], -v[0:1]
	v_mul_f64_e32 v[0:1], v[17:18], v[60:61]
	s_delay_alu instid0(VALU_DEP_1)
	v_fma_f64 v[58:59], v[19:20], v[58:59], v[0:1]
	s_clause 0x1
	global_load_b128 v[62:65], v2, s[2:3] offset:3232
	global_load_b128 v[17:20], v2, s[2:3] offset:3248
	s_wait_loadcnt 0x1
	v_mul_f64_e32 v[0:1], v[23:24], v[64:65]
	scratch_store_b128 off, v[62:65], off offset:412 ; 16-byte Folded Spill
	s_wait_loadcnt 0x0
	scratch_store_b128 off, v[17:20], off offset:396 ; 16-byte Folded Spill
	v_fma_f64 v[60:61], v[21:22], v[62:63], -v[0:1]
	v_mul_f64_e32 v[0:1], v[21:22], v[64:65]
	s_delay_alu instid0(VALU_DEP_1) | instskip(SKIP_1) | instid1(VALU_DEP_1)
	v_fma_f64 v[62:63], v[23:24], v[62:63], v[0:1]
	v_mul_f64_e32 v[0:1], v[15:16], v[19:20]
	v_fma_f64 v[104:105], v[13:14], v[17:18], -v[0:1]
	v_mul_f64_e32 v[0:1], v[13:14], v[19:20]
	s_delay_alu instid0(VALU_DEP_1)
	v_fma_f64 v[106:107], v[15:16], v[17:18], v[0:1]
	s_clause 0x1
	global_load_b128 v[17:20], v2, s[2:3] offset:3264
	global_load_b128 v[13:16], v2, s[2:3] offset:3280
	s_mov_b32 s2, 0x4755a5e
	s_mov_b32 s3, 0x3fe2cf23
	s_wait_alu 0xfffe
	s_mov_b32 s10, s2
	s_wait_loadcnt_dscnt 0x100
	v_mul_f64_e32 v[0:1], v[11:12], v[19:20]
	scratch_store_b128 off, v[17:20], off offset:444 ; 16-byte Folded Spill
	s_wait_loadcnt 0x0
	scratch_store_b128 off, v[13:16], off offset:428 ; 16-byte Folded Spill
	v_fma_f64 v[240:241], v[9:10], v[17:18], -v[0:1]
	v_mul_f64_e32 v[0:1], v[9:10], v[19:20]
	s_delay_alu instid0(VALU_DEP_2) | instskip(NEXT) | instid1(VALU_DEP_2)
	v_add_f64_e64 v[64:65], v[104:105], -v[240:241]
	v_fma_f64 v[242:243], v[11:12], v[17:18], v[0:1]
	ds_load_b128 v[0:3], v53 offset:15232
	s_wait_dscnt 0x0
	v_mul_f64_e32 v[9:10], v[2:3], v[15:16]
	s_delay_alu instid0(VALU_DEP_1) | instskip(SKIP_1) | instid1(VALU_DEP_2)
	v_fma_f64 v[249:250], v[0:1], v[13:14], -v[9:10]
	v_mul_f64_e32 v[0:1], v[0:1], v[15:16]
	v_add_f64_e64 v[66:67], v[60:61], -v[249:250]
	s_delay_alu instid0(VALU_DEP_2) | instskip(SKIP_3) | instid1(VALU_DEP_2)
	v_fma_f64 v[251:252], v[2:3], v[13:14], v[0:1]
	v_add_f64_e64 v[0:1], v[25:26], -v[29:30]
	v_add_f64_e64 v[2:3], v[37:38], -v[33:34]
	v_add_f64_e32 v[13:14], v[29:30], v[33:34]
	v_add_f64_e32 v[17:18], v[0:1], v[2:3]
	v_add_f64_e64 v[0:1], v[27:28], -v[31:32]
	v_add_f64_e64 v[2:3], v[41:42], -v[35:36]
	s_delay_alu instid0(VALU_DEP_1)
	v_add_f64_e32 v[19:20], v[0:1], v[2:3]
	ds_load_b128 v[0:3], v53
	ds_load_b128 v[9:12], v53 offset:1088
	s_wait_dscnt 0x1
	v_fma_f64 v[21:22], v[13:14], -0.5, v[0:1]
	v_add_f64_e32 v[13:14], v[31:32], v[35:36]
	s_delay_alu instid0(VALU_DEP_1) | instskip(NEXT) | instid1(VALU_DEP_3)
	v_fma_f64 v[23:24], v[13:14], -0.5, v[2:3]
	v_fma_f64 v[13:14], v[245:246], s[12:13], v[21:22]
	v_fma_f64 v[21:22], v[245:246], s[14:15], v[21:22]
	s_delay_alu instid0(VALU_DEP_3) | instskip(NEXT) | instid1(VALU_DEP_3)
	v_fma_f64 v[15:16], v[253:254], s[14:15], v[23:24]
	v_fma_f64 v[13:14], v[247:248], s[2:3], v[13:14]
	;; [unrolled: 1-line block ×3, first 2 shown]
	s_wait_alu 0xfffe
	s_delay_alu instid0(VALU_DEP_4) | instskip(NEXT) | instid1(VALU_DEP_4)
	v_fma_f64 v[21:22], v[247:248], s[10:11], v[21:22]
	v_fma_f64 v[15:16], v[51:52], s[10:11], v[15:16]
	s_delay_alu instid0(VALU_DEP_4) | instskip(NEXT) | instid1(VALU_DEP_4)
	v_fma_f64 v[13:14], v[17:18], s[18:19], v[13:14]
	v_fma_f64 v[23:24], v[51:52], s[2:3], v[23:24]
	s_delay_alu instid0(VALU_DEP_4) | instskip(SKIP_2) | instid1(VALU_DEP_4)
	v_fma_f64 v[17:18], v[17:18], s[18:19], v[21:22]
	v_add_f64_e32 v[21:22], v[25:26], v[37:38]
	v_fma_f64 v[15:16], v[19:20], s[18:19], v[15:16]
	v_fma_f64 v[19:20], v[19:20], s[18:19], v[23:24]
	v_add_f64_e32 v[23:24], v[27:28], v[41:42]
	s_delay_alu instid0(VALU_DEP_4) | instskip(SKIP_2) | instid1(VALU_DEP_4)
	v_fma_f64 v[21:22], v[21:22], -0.5, v[0:1]
	v_add_f64_e32 v[0:1], v[0:1], v[25:26]
	v_add_f64_e64 v[25:26], v[29:30], -v[25:26]
	v_fma_f64 v[23:24], v[23:24], -0.5, v[2:3]
	v_add_f64_e32 v[2:3], v[2:3], v[27:28]
	s_delay_alu instid0(VALU_DEP_4) | instskip(SKIP_2) | instid1(VALU_DEP_4)
	v_add_f64_e32 v[0:1], v[0:1], v[29:30]
	v_add_f64_e64 v[27:28], v[31:32], -v[27:28]
	v_add_f64_e64 v[29:30], v[33:34], -v[37:38]
	v_add_f64_e32 v[2:3], v[2:3], v[31:32]
	s_delay_alu instid0(VALU_DEP_4)
	v_add_f64_e32 v[0:1], v[0:1], v[33:34]
	v_add_f64_e64 v[31:32], v[35:36], -v[41:42]
	v_fma_f64 v[33:34], v[247:248], s[14:15], v[21:22]
	v_fma_f64 v[21:22], v[247:248], s[12:13], v[21:22]
	v_add_f64_e32 v[25:26], v[25:26], v[29:30]
	v_add_f64_e64 v[247:248], v[39:40], -v[56:57]
	v_add_f64_e32 v[2:3], v[2:3], v[35:36]
	v_fma_f64 v[35:36], v[51:52], s[12:13], v[23:24]
	v_add_f64_e32 v[27:28], v[27:28], v[31:32]
	v_fma_f64 v[29:30], v[245:246], s[2:3], v[33:34]
	v_fma_f64 v[31:32], v[245:246], s[10:11], v[21:22]
	;; [unrolled: 1-line block ×3, first 2 shown]
	v_add_f64_e32 v[0:1], v[0:1], v[37:38]
	v_add_f64_e64 v[51:52], v[43:44], -v[58:59]
	v_add_f64_e64 v[245:246], v[47:48], -v[54:55]
	v_add_f64_e32 v[2:3], v[2:3], v[41:42]
	v_fma_f64 v[33:34], v[253:254], s[10:11], v[35:36]
	v_fma_f64 v[21:22], v[25:26], s[18:19], v[29:30]
	;; [unrolled: 1-line block ×3, first 2 shown]
	v_add_f64_e64 v[29:30], v[39:40], -v[45:46]
	v_add_f64_e64 v[31:32], v[56:57], -v[49:50]
	v_fma_f64 v[35:36], v[253:254], s[2:3], v[23:24]
	v_add_f64_e64 v[253:254], v[45:46], -v[49:50]
	v_fma_f64 v[23:24], v[27:28], s[18:19], v[33:34]
	ds_store_b128 v53, v[13:16] offset:3264
	ds_store_b128 v53, v[21:24] offset:6528
	v_add_f64_e32 v[33:34], v[29:30], v[31:32]
	v_add_f64_e64 v[29:30], v[43:44], -v[47:48]
	v_add_f64_e64 v[31:32], v[58:59], -v[54:55]
	v_fma_f64 v[27:28], v[27:28], s[18:19], v[35:36]
	s_delay_alu instid0(VALU_DEP_2) | instskip(SKIP_2) | instid1(VALU_DEP_1)
	v_add_f64_e32 v[35:36], v[29:30], v[31:32]
	v_add_f64_e32 v[29:30], v[45:46], v[49:50]
	s_wait_dscnt 0x2
	v_fma_f64 v[37:38], v[29:30], -0.5, v[9:10]
	v_add_f64_e32 v[29:30], v[47:48], v[54:55]
	s_delay_alu instid0(VALU_DEP_1) | instskip(NEXT) | instid1(VALU_DEP_3)
	v_fma_f64 v[41:42], v[29:30], -0.5, v[11:12]
	v_fma_f64 v[29:30], v[51:52], s[12:13], v[37:38]
	v_fma_f64 v[37:38], v[51:52], s[14:15], v[37:38]
	s_delay_alu instid0(VALU_DEP_3) | instskip(NEXT) | instid1(VALU_DEP_3)
	v_fma_f64 v[31:32], v[247:248], s[14:15], v[41:42]
	v_fma_f64 v[29:30], v[245:246], s[2:3], v[29:30]
	;; [unrolled: 1-line block ×3, first 2 shown]
	s_delay_alu instid0(VALU_DEP_4) | instskip(NEXT) | instid1(VALU_DEP_4)
	v_fma_f64 v[37:38], v[245:246], s[10:11], v[37:38]
	v_fma_f64 v[31:32], v[253:254], s[10:11], v[31:32]
	s_delay_alu instid0(VALU_DEP_4) | instskip(NEXT) | instid1(VALU_DEP_4)
	v_fma_f64 v[29:30], v[33:34], s[18:19], v[29:30]
	v_fma_f64 v[41:42], v[253:254], s[2:3], v[41:42]
	s_delay_alu instid0(VALU_DEP_4) | instskip(SKIP_2) | instid1(VALU_DEP_4)
	v_fma_f64 v[33:34], v[33:34], s[18:19], v[37:38]
	v_add_f64_e32 v[37:38], v[39:40], v[56:57]
	v_fma_f64 v[31:32], v[35:36], s[18:19], v[31:32]
	v_fma_f64 v[35:36], v[35:36], s[18:19], v[41:42]
	v_add_f64_e32 v[41:42], v[43:44], v[58:59]
	s_delay_alu instid0(VALU_DEP_4) | instskip(SKIP_2) | instid1(VALU_DEP_4)
	v_fma_f64 v[37:38], v[37:38], -0.5, v[9:10]
	v_add_f64_e32 v[9:10], v[9:10], v[39:40]
	v_add_f64_e64 v[39:40], v[45:46], -v[39:40]
	v_fma_f64 v[41:42], v[41:42], -0.5, v[11:12]
	v_add_f64_e32 v[11:12], v[11:12], v[43:44]
	s_delay_alu instid0(VALU_DEP_4) | instskip(SKIP_2) | instid1(VALU_DEP_4)
	v_add_f64_e32 v[9:10], v[9:10], v[45:46]
	v_add_f64_e64 v[43:44], v[47:48], -v[43:44]
	v_add_f64_e64 v[45:46], v[49:50], -v[56:57]
	v_add_f64_e32 v[11:12], v[11:12], v[47:48]
	s_delay_alu instid0(VALU_DEP_4)
	v_add_f64_e32 v[9:10], v[9:10], v[49:50]
	v_add_f64_e64 v[47:48], v[54:55], -v[58:59]
	v_fma_f64 v[49:50], v[245:246], s[14:15], v[37:38]
	v_fma_f64 v[37:38], v[245:246], s[12:13], v[37:38]
	v_add_f64_e32 v[45:46], v[39:40], v[45:46]
	v_add_f64_e32 v[11:12], v[11:12], v[54:55]
	v_fma_f64 v[54:55], v[253:254], s[12:13], v[41:42]
	v_fma_f64 v[41:42], v[253:254], s[14:15], v[41:42]
	v_add_f64_e32 v[43:44], v[43:44], v[47:48]
	v_fma_f64 v[39:40], v[51:52], s[2:3], v[49:50]
	v_fma_f64 v[47:48], v[51:52], s[10:11], v[37:38]
	v_add_f64_e32 v[9:10], v[9:10], v[56:57]
	v_add_f64_e64 v[253:254], v[62:63], -v[251:252]
	v_add_f64_e32 v[11:12], v[11:12], v[58:59]
	v_fma_f64 v[49:50], v[247:248], s[10:11], v[54:55]
	v_fma_f64 v[51:52], v[247:248], s[2:3], v[41:42]
	v_add_f64_e64 v[58:59], v[106:107], -v[242:243]
	v_fma_f64 v[37:38], v[45:46], s[18:19], v[39:40]
	v_fma_f64 v[41:42], v[45:46], s[18:19], v[47:48]
	v_add_f64_e64 v[45:46], v[104:105], -v[60:61]
	v_add_f64_e64 v[47:48], v[240:241], -v[249:250]
	v_fma_f64 v[39:40], v[43:44], s[18:19], v[49:50]
	v_fma_f64 v[43:44], v[43:44], s[18:19], v[51:52]
	s_delay_alu instid0(VALU_DEP_3) | instskip(SKIP_2) | instid1(VALU_DEP_1)
	v_add_f64_e32 v[49:50], v[45:46], v[47:48]
	v_add_f64_e64 v[45:46], v[106:107], -v[62:63]
	v_add_f64_e64 v[47:48], v[242:243], -v[251:252]
	v_add_f64_e32 v[51:52], v[45:46], v[47:48]
	v_add_f64_e32 v[45:46], v[60:61], v[249:250]
	s_delay_alu instid0(VALU_DEP_1) | instskip(SKIP_1) | instid1(VALU_DEP_1)
	v_fma_f64 v[54:55], v[45:46], -0.5, v[5:6]
	v_add_f64_e32 v[45:46], v[62:63], v[251:252]
	v_fma_f64 v[56:57], v[45:46], -0.5, v[7:8]
	s_delay_alu instid0(VALU_DEP_3) | instskip(SKIP_1) | instid1(VALU_DEP_3)
	v_fma_f64 v[45:46], v[58:59], s[14:15], v[54:55]
	v_fma_f64 v[54:55], v[58:59], s[12:13], v[54:55]
	;; [unrolled: 1-line block ×4, first 2 shown]
	s_delay_alu instid0(VALU_DEP_4) | instskip(NEXT) | instid1(VALU_DEP_4)
	v_fma_f64 v[45:46], v[253:254], s[2:3], v[45:46]
	v_fma_f64 v[54:55], v[253:254], s[10:11], v[54:55]
	s_delay_alu instid0(VALU_DEP_4) | instskip(NEXT) | instid1(VALU_DEP_4)
	v_fma_f64 v[47:48], v[66:67], s[10:11], v[47:48]
	v_fma_f64 v[56:57], v[66:67], s[2:3], v[56:57]
	;; [unrolled: 3-line block ×3, first 2 shown]
	v_add_f64_e32 v[49:50], v[104:105], v[240:241]
	v_add_f64_e64 v[54:55], v[60:61], -v[104:105]
	v_fma_f64 v[47:48], v[51:52], s[18:19], v[47:48]
	v_fma_f64 v[247:248], v[51:52], s[18:19], v[56:57]
	v_add_f64_e32 v[51:52], v[106:107], v[242:243]
	v_add_f64_e64 v[56:57], v[62:63], -v[106:107]
	v_fma_f64 v[49:50], v[49:50], -0.5, v[5:6]
	v_add_f64_e32 v[4:5], v[5:6], v[60:61]
	v_add_f64_e64 v[60:61], v[249:250], -v[240:241]
	v_fma_f64 v[51:52], v[51:52], -0.5, v[7:8]
	v_add_f64_e32 v[6:7], v[7:8], v[62:63]
	v_add_f64_e64 v[62:63], v[251:252], -v[242:243]
	v_add_f64_e32 v[4:5], v[4:5], v[104:105]
	v_fma_f64 v[104:105], v[253:254], s[12:13], v[49:50]
	v_fma_f64 v[49:50], v[253:254], s[14:15], v[49:50]
	v_add_f64_e32 v[54:55], v[54:55], v[60:61]
	v_add_f64_e32 v[6:7], v[6:7], v[106:107]
	v_fma_f64 v[106:107], v[66:67], s[14:15], v[51:52]
	v_fma_f64 v[51:52], v[66:67], s[12:13], v[51:52]
	v_add_f64_e32 v[4:5], v[4:5], v[240:241]
	;; [unrolled: 4-line block ×3, first 2 shown]
	v_fma_f64 v[58:59], v[64:65], s[10:11], v[106:107]
	v_fma_f64 v[51:52], v[64:65], s[2:3], v[51:52]
	v_add_f64_e32 v[4:5], v[4:5], v[249:250]
	s_add_nc_u64 s[2:3], s[16:17], 0x3fc0
	v_fma_f64 v[249:250], v[54:55], s[18:19], v[60:61]
	v_fma_f64 v[240:241], v[54:55], s[18:19], v[49:50]
	v_add_f64_e32 v[6:7], v[6:7], v[251:252]
	v_fma_f64 v[251:252], v[56:57], s[18:19], v[58:59]
	v_fma_f64 v[242:243], v[56:57], s[18:19], v[51:52]
	v_lshl_add_u32 v52, v226, 4, v140
	ds_store_b128 v52, v[25:28] offset:9792
	ds_store_b128 v52, v[17:20] offset:13056
	ds_store_b128 v53, v[0:3]
	ds_store_b128 v53, v[9:12] offset:1088
	ds_store_b128 v53, v[29:32] offset:4352
	;; [unrolled: 1-line block ×10, first 2 shown]
	global_wb scope:SCOPE_SE
	s_wait_storecnt_dscnt 0x0
	s_barrier_signal -1
	s_barrier_wait -1
	global_inv scope:SCOPE_SE
	scratch_load_b64 v[0:1], off, off       ; 8-byte Folded Reload
	s_wait_loadcnt 0x0
	global_load_b128 v[0:3], v[0:1], off offset:16320
	ds_load_b128 v[4:7], v53
	ds_load_b128 v[8:11], v53 offset:1088
	ds_load_b128 v[16:19], v53 offset:8160
	;; [unrolled: 1-line block ×3, first 2 shown]
	global_load_b128 v[20:23], v244, s[2:3] offset:9248
	s_wait_loadcnt_dscnt 0x103
	v_mul_f64_e32 v[12:13], v[6:7], v[2:3]
	v_mul_f64_e32 v[14:15], v[4:5], v[2:3]
	s_delay_alu instid0(VALU_DEP_2) | instskip(NEXT) | instid1(VALU_DEP_2)
	v_fma_f64 v[2:3], v[4:5], v[0:1], -v[12:13]
	v_fma_f64 v[4:5], v[6:7], v[0:1], v[14:15]
	s_clause 0x2
	global_load_b128 v[12:15], v244, s[2:3] offset:8160
	global_load_b128 v[28:31], v244, s[2:3] offset:1088
	;; [unrolled: 1-line block ×3, first 2 shown]
	s_wait_loadcnt_dscnt 0x201
	v_mul_f64_e32 v[0:1], v[18:19], v[14:15]
	v_mul_f64_e32 v[6:7], v[16:17], v[14:15]
	s_delay_alu instid0(VALU_DEP_2) | instskip(NEXT) | instid1(VALU_DEP_2)
	v_fma_f64 v[14:15], v[16:17], v[12:13], -v[0:1]
	v_fma_f64 v[16:17], v[18:19], v[12:13], v[6:7]
	s_wait_loadcnt 0x1
	v_mul_f64_e32 v[0:1], v[10:11], v[30:31]
	v_mul_f64_e32 v[12:13], v[8:9], v[30:31]
	s_delay_alu instid0(VALU_DEP_2) | instskip(NEXT) | instid1(VALU_DEP_2)
	v_fma_f64 v[6:7], v[8:9], v[28:29], -v[0:1]
	v_fma_f64 v[8:9], v[10:11], v[28:29], v[12:13]
	ds_load_b128 v[10:13], v53 offset:9248
	ds_load_b128 v[28:31], v53 offset:10336
	s_wait_dscnt 0x1
	v_mul_f64_e32 v[0:1], v[12:13], v[22:23]
	v_mul_f64_e32 v[18:19], v[10:11], v[22:23]
	s_delay_alu instid0(VALU_DEP_2) | instskip(NEXT) | instid1(VALU_DEP_2)
	v_fma_f64 v[10:11], v[10:11], v[20:21], -v[0:1]
	v_fma_f64 v[12:13], v[12:13], v[20:21], v[18:19]
	ds_load_b128 v[18:21], v53 offset:2176
	ds_load_b128 v[36:39], v53 offset:3264
	s_wait_loadcnt_dscnt 0x1
	v_mul_f64_e32 v[0:1], v[20:21], v[34:35]
	v_mul_f64_e32 v[22:23], v[18:19], v[34:35]
	s_delay_alu instid0(VALU_DEP_2) | instskip(NEXT) | instid1(VALU_DEP_2)
	v_fma_f64 v[18:19], v[18:19], v[32:33], -v[0:1]
	v_fma_f64 v[20:21], v[20:21], v[32:33], v[22:23]
	s_clause 0x1
	global_load_b128 v[32:35], v244, s[2:3] offset:10336
	global_load_b128 v[40:43], v244, s[2:3] offset:11424
	s_wait_loadcnt 0x1
	v_mul_f64_e32 v[0:1], v[30:31], v[34:35]
	v_mul_f64_e32 v[22:23], v[28:29], v[34:35]
	s_delay_alu instid0(VALU_DEP_2) | instskip(NEXT) | instid1(VALU_DEP_2)
	v_fma_f64 v[28:29], v[28:29], v[32:33], -v[0:1]
	v_fma_f64 v[30:31], v[30:31], v[32:33], v[22:23]
	s_clause 0x1
	global_load_b128 v[32:35], v244, s[2:3] offset:3264
	global_load_b128 v[44:47], v244, s[2:3] offset:4352
	ds_load_b128 v[48:51], v53 offset:11424
	ds_load_b128 v[245:248], v53 offset:12512
	s_wait_loadcnt_dscnt 0x102
	v_mul_f64_e32 v[0:1], v[38:39], v[34:35]
	v_mul_f64_e32 v[22:23], v[36:37], v[34:35]
	s_delay_alu instid0(VALU_DEP_2) | instskip(NEXT) | instid1(VALU_DEP_2)
	v_fma_f64 v[34:35], v[36:37], v[32:33], -v[0:1]
	v_fma_f64 v[36:37], v[38:39], v[32:33], v[22:23]
	s_wait_dscnt 0x1
	v_mul_f64_e32 v[0:1], v[50:51], v[42:43]
	v_mul_f64_e32 v[22:23], v[48:49], v[42:43]
	s_delay_alu instid0(VALU_DEP_2) | instskip(NEXT) | instid1(VALU_DEP_2)
	v_fma_f64 v[38:39], v[48:49], v[40:41], -v[0:1]
	v_fma_f64 v[40:41], v[50:51], v[40:41], v[22:23]
	ds_load_b128 v[48:51], v53 offset:4352
	ds_load_b128 v[249:252], v53 offset:5440
	s_wait_loadcnt_dscnt 0x1
	v_mul_f64_e32 v[0:1], v[50:51], v[46:47]
	v_mul_f64_e32 v[22:23], v[48:49], v[46:47]
	s_delay_alu instid0(VALU_DEP_2)
	v_fma_f64 v[42:43], v[48:49], v[44:45], -v[0:1]
	s_clause 0x1
	global_load_b128 v[46:49], v244, s[2:3] offset:12512
	global_load_b128 v[104:107], v244, s[2:3] offset:13600
	v_fma_f64 v[44:45], v[50:51], v[44:45], v[22:23]
	s_wait_loadcnt 0x1
	v_mul_f64_e32 v[0:1], v[247:248], v[48:49]
	v_mul_f64_e32 v[22:23], v[245:246], v[48:49]
	s_delay_alu instid0(VALU_DEP_2) | instskip(NEXT) | instid1(VALU_DEP_2)
	v_fma_f64 v[48:49], v[245:246], v[46:47], -v[0:1]
	v_fma_f64 v[50:51], v[247:248], v[46:47], v[22:23]
	s_clause 0x1
	global_load_b128 v[245:248], v244, s[2:3] offset:5440
	global_load_b128 v[54:57], v244, s[2:3] offset:6528
	s_wait_loadcnt_dscnt 0x100
	v_mul_f64_e32 v[0:1], v[251:252], v[247:248]
	v_mul_f64_e32 v[22:23], v[249:250], v[247:248]
	s_wait_loadcnt 0x0
	v_mul_f64_e32 v[32:33], v[24:25], v[56:57]
	s_delay_alu instid0(VALU_DEP_3) | instskip(NEXT) | instid1(VALU_DEP_3)
	v_fma_f64 v[247:248], v[249:250], v[245:246], -v[0:1]
	v_fma_f64 v[249:250], v[251:252], v[245:246], v[22:23]
	ds_load_b128 v[251:254], v53 offset:13600
	ds_load_b128 v[58:61], v53 offset:14688
	s_wait_dscnt 0x1
	v_mul_f64_e32 v[0:1], v[253:254], v[106:107]
	v_mul_f64_e32 v[22:23], v[251:252], v[106:107]
	s_delay_alu instid0(VALU_DEP_2) | instskip(SKIP_1) | instid1(VALU_DEP_3)
	v_fma_f64 v[251:252], v[251:252], v[104:105], -v[0:1]
	v_mul_f64_e32 v[0:1], v[26:27], v[56:57]
	v_fma_f64 v[253:254], v[253:254], v[104:105], v[22:23]
	s_delay_alu instid0(VALU_DEP_2)
	v_fma_f64 v[22:23], v[24:25], v[54:55], -v[0:1]
	v_fma_f64 v[24:25], v[26:27], v[54:55], v[32:33]
	global_load_b128 v[54:57], v244, s[2:3] offset:14688
	s_wait_loadcnt_dscnt 0x0
	v_mul_f64_e32 v[0:1], v[60:61], v[56:57]
	v_mul_f64_e32 v[26:27], v[58:59], v[56:57]
	s_delay_alu instid0(VALU_DEP_2) | instskip(NEXT) | instid1(VALU_DEP_2)
	v_fma_f64 v[56:57], v[58:59], v[54:55], -v[0:1]
	v_fma_f64 v[58:59], v[60:61], v[54:55], v[26:27]
	ds_store_b128 v53, v[2:5]
	ds_store_b128 v53, v[6:9] offset:1088
	ds_store_b128 v53, v[10:13] offset:9248
	;; [unrolled: 1-line block ×13, first 2 shown]
	s_and_saveexec_b32 s1, vcc_lo
	s_cbranch_execz .LBB0_17
; %bb.16:
	s_wait_alu 0xfffe
	v_add_co_u32 v4, s2, s2, v244
	s_wait_alu 0xf1ff
	v_add_co_ci_u32_e64 v5, null, s3, 0, s2
	s_clause 0x1
	global_load_b128 v[0:3], v[4:5], off offset:7616
	global_load_b128 v[4:7], v[4:5], off offset:15776
	ds_load_b128 v[8:11], v53 offset:7616
	ds_load_b128 v[12:15], v53 offset:15776
	s_wait_loadcnt_dscnt 0x101
	v_mul_f64_e32 v[16:17], v[10:11], v[2:3]
	v_mul_f64_e32 v[2:3], v[8:9], v[2:3]
	s_wait_loadcnt_dscnt 0x0
	v_mul_f64_e32 v[18:19], v[14:15], v[6:7]
	v_mul_f64_e32 v[20:21], v[12:13], v[6:7]
	s_delay_alu instid0(VALU_DEP_4) | instskip(NEXT) | instid1(VALU_DEP_4)
	v_fma_f64 v[6:7], v[8:9], v[0:1], -v[16:17]
	v_fma_f64 v[8:9], v[10:11], v[0:1], v[2:3]
	s_delay_alu instid0(VALU_DEP_4) | instskip(NEXT) | instid1(VALU_DEP_4)
	v_fma_f64 v[0:1], v[12:13], v[4:5], -v[18:19]
	v_fma_f64 v[2:3], v[14:15], v[4:5], v[20:21]
	ds_store_b128 v53, v[6:9] offset:7616
	ds_store_b128 v53, v[0:3] offset:15776
.LBB0_17:
	s_wait_alu 0xfffe
	s_or_b32 exec_lo, exec_lo, s1
	global_wb scope:SCOPE_SE
	s_wait_dscnt 0x0
	s_barrier_signal -1
	s_barrier_wait -1
	global_inv scope:SCOPE_SE
	ds_load_b128 v[4:7], v53
	ds_load_b128 v[8:11], v53 offset:1088
	ds_load_b128 v[16:19], v53 offset:9248
	;; [unrolled: 1-line block ×13, first 2 shown]
	s_and_saveexec_b32 s1, vcc_lo
	s_cbranch_execz .LBB0_19
; %bb.18:
	ds_load_b128 v[240:243], v52 offset:7616
	ds_load_b128 v[236:239], v52 offset:15776
.LBB0_19:
	s_wait_alu 0xfffe
	s_or_b32 exec_lo, exec_lo, s1
	s_wait_dscnt 0x3
	v_add_f64_e64 v[24:25], v[4:5], -v[24:25]
	v_add_f64_e64 v[26:27], v[6:7], -v[26:27]
	;; [unrolled: 1-line block ×4, first 2 shown]
	s_wait_dscnt 0x1
	v_add_f64_e64 v[12:13], v[44:45], -v[12:13]
	s_wait_dscnt 0x0
	v_add_f64_e64 v[40:41], v[240:241], -v[236:237]
	v_add_f64_e64 v[42:43], v[242:243], -v[238:239]
	global_wb scope:SCOPE_SE
	s_barrier_signal -1
	s_barrier_wait -1
	global_inv scope:SCOPE_SE
	v_add_f64_e64 v[16:17], v[8:9], -v[16:17]
	v_add_f64_e64 v[18:19], v[10:11], -v[18:19]
	;; [unrolled: 1-line block ×9, first 2 shown]
	v_fma_f64 v[236:237], v[4:5], 2.0, -v[24:25]
	v_fma_f64 v[238:239], v[6:7], 2.0, -v[26:27]
	ds_store_b128 v142, v[24:27] offset:16
	ds_store_b128 v142, v[236:239]
	v_fma_f64 v[4:5], v[44:45], 2.0, -v[12:13]
	scratch_load_b32 v44, off, off offset:256 th:TH_LOAD_LU ; 4-byte Folded Reload
	v_fma_f64 v[36:37], v[8:9], 2.0, -v[16:17]
	v_fma_f64 v[38:39], v[10:11], 2.0, -v[18:19]
	;; [unrolled: 1-line block ×13, first 2 shown]
	s_wait_loadcnt 0x0
	ds_store_b128 v44, v[36:39]
	ds_store_b128 v44, v[16:19] offset:16
	scratch_load_b32 v44, off, off offset:264 th:TH_LOAD_LU ; 4-byte Folded Reload
	s_wait_loadcnt 0x0
	ds_store_b128 v44, v[20:23]
	ds_store_b128 v44, v[0:3] offset:16
	scratch_load_b32 v44, off, off offset:272 th:TH_LOAD_LU ; 4-byte Folded Reload
	s_wait_loadcnt 0x0
	ds_store_b128 v44, v[8:11]
	ds_store_b128 v44, v[248:251] offset:16
	scratch_load_b32 v44, off, off offset:280 th:TH_LOAD_LU ; 4-byte Folded Reload
	s_wait_loadcnt 0x0
	ds_store_b128 v44, v[252:255]
	ds_store_b128 v44, v[244:247] offset:16
	scratch_load_b32 v44, off, off offset:288 th:TH_LOAD_LU ; 4-byte Folded Reload
	s_wait_loadcnt 0x0
	ds_store_b128 v44, v[4:7]
	ds_store_b128 v44, v[12:15] offset:16
	scratch_load_b32 v44, off, off offset:296 th:TH_LOAD_LU ; 4-byte Folded Reload
	s_wait_loadcnt 0x0
	ds_store_b128 v44, v[28:31]
	ds_store_b128 v44, v[32:35] offset:16
	s_and_saveexec_b32 s1, vcc_lo
	s_cbranch_execz .LBB0_21
; %bb.20:
	scratch_load_b32 v44, off, off offset:564 th:TH_LOAD_LU ; 4-byte Folded Reload
	s_wait_loadcnt 0x0
	ds_store_b128 v44, v[240:243]
	ds_store_b128 v44, v[40:43] offset:16
.LBB0_21:
	s_wait_alu 0xfffe
	s_or_b32 exec_lo, exec_lo, s1
	global_wb scope:SCOPE_SE
	s_wait_dscnt 0x0
	s_barrier_signal -1
	s_barrier_wait -1
	global_inv scope:SCOPE_SE
	s_and_saveexec_b32 s1, s0
	s_cbranch_execz .LBB0_23
; %bb.22:
	ds_load_b128 v[236:239], v53
	ds_load_b128 v[24:27], v53 offset:960
	ds_load_b128 v[36:39], v53 offset:1920
	;; [unrolled: 1-line block ×16, first 2 shown]
.LBB0_23:
	s_wait_alu 0xfffe
	s_or_b32 exec_lo, exec_lo, s1
	scratch_load_b128 v[46:49], off, off offset:240 th:TH_LOAD_LU ; 16-byte Folded Reload
	s_mov_b32 s22, 0x2a9d6da3
	s_mov_b32 s23, 0xbfe58eea
	;; [unrolled: 1-line block ×27, first 2 shown]
	s_wait_alu 0xfffe
	s_mov_b32 s36, s42
	s_mov_b32 s20, 0x2b2883cd
	;; [unrolled: 1-line block ×6, first 2 shown]
	s_wait_alu 0xfffe
	s_mov_b32 s48, s40
	s_mov_b32 s24, 0x370991
	;; [unrolled: 1-line block ×7, first 2 shown]
	s_wait_loadcnt_dscnt 0xf
	v_mul_f64_e32 v[44:45], v[48:49], v[24:25]
	s_delay_alu instid0(VALU_DEP_1) | instskip(SKIP_1) | instid1(VALU_DEP_1)
	v_fma_f64 v[50:51], v[46:47], v[26:27], -v[44:45]
	v_mul_f64_e32 v[26:27], v[48:49], v[26:27]
	v_fma_f64 v[26:27], v[46:47], v[24:25], v[26:27]
	s_wait_dscnt 0x0
	v_mul_f64_e32 v[24:25], v[114:115], v[184:185]
	s_delay_alu instid0(VALU_DEP_1) | instskip(SKIP_1) | instid1(VALU_DEP_1)
	v_fma_f64 v[44:45], v[112:113], v[186:187], -v[24:25]
	v_mul_f64_e32 v[24:25], v[114:115], v[186:187]
	v_fma_f64 v[48:49], v[112:113], v[184:185], v[24:25]
	v_mul_f64_e32 v[24:25], v[86:87], v[36:37]
	s_delay_alu instid0(VALU_DEP_1) | instskip(SKIP_1) | instid1(VALU_DEP_1)
	v_fma_f64 v[54:55], v[84:85], v[38:39], -v[24:25]
	v_mul_f64_e32 v[24:25], v[86:87], v[38:39]
	v_fma_f64 v[64:65], v[84:85], v[36:37], v[24:25]
	scratch_load_b128 v[36:39], off, off offset:476 th:TH_LOAD_LU ; 16-byte Folded Reload
	v_mul_f64_e32 v[24:25], v[98:99], v[40:41]
	s_delay_alu instid0(VALU_DEP_1) | instskip(SKIP_1) | instid1(VALU_DEP_2)
	v_fma_f64 v[56:57], v[96:97], v[42:43], -v[24:25]
	v_mul_f64_e32 v[24:25], v[98:99], v[42:43]
	v_add_f64_e64 v[126:127], v[54:55], -v[56:57]
	s_delay_alu instid0(VALU_DEP_2) | instskip(NEXT) | instid1(VALU_DEP_2)
	v_fma_f64 v[58:59], v[96:97], v[40:41], v[24:25]
	v_mul_f64_e32 v[205:206], s[38:39], v[126:127]
	s_delay_alu instid0(VALU_DEP_2) | instskip(SKIP_2) | instid1(VALU_DEP_1)
	v_add_f64_e64 v[114:115], v[64:65], -v[58:59]
	s_wait_loadcnt 0x0
	v_mul_f64_e32 v[24:25], v[38:39], v[16:17]
	v_fma_f64 v[24:25], v[36:37], v[18:19], -v[24:25]
	v_mul_f64_e32 v[18:19], v[38:39], v[18:19]
	s_delay_alu instid0(VALU_DEP_1) | instskip(SKIP_2) | instid1(VALU_DEP_1)
	v_fma_f64 v[84:85], v[36:37], v[16:17], v[18:19]
	scratch_load_b128 v[36:39], off, off offset:304 th:TH_LOAD_LU ; 16-byte Folded Reload
	v_mul_f64_e32 v[16:17], v[82:83], v[240:241]
	v_fma_f64 v[66:67], v[80:81], v[242:243], -v[16:17]
	v_mul_f64_e32 v[16:17], v[82:83], v[242:243]
	s_delay_alu instid0(VALU_DEP_1) | instskip(SKIP_2) | instid1(VALU_DEP_1)
	v_fma_f64 v[96:97], v[80:81], v[240:241], v[16:17]
	s_wait_loadcnt 0x0
	v_mul_f64_e32 v[16:17], v[38:39], v[20:21]
	v_fma_f64 v[82:83], v[36:37], v[22:23], -v[16:17]
	v_mul_f64_e32 v[16:17], v[38:39], v[22:23]
	s_delay_alu instid0(VALU_DEP_1) | instskip(SKIP_2) | instid1(VALU_DEP_1)
	v_fma_f64 v[104:105], v[36:37], v[20:21], v[16:17]
	scratch_load_b128 v[18:21], off, off offset:320 th:TH_LOAD_LU ; 16-byte Folded Reload
	v_mul_f64_e32 v[16:17], v[74:75], v[32:33]
	v_fma_f64 v[86:87], v[72:73], v[34:35], -v[16:17]
	v_mul_f64_e32 v[16:17], v[74:75], v[34:35]
	s_delay_alu instid0(VALU_DEP_2) | instskip(NEXT) | instid1(VALU_DEP_2)
	v_add_f64_e64 v[220:221], v[82:83], -v[86:87]
	v_fma_f64 v[32:33], v[72:73], v[32:33], v[16:17]
	v_add_f64_e32 v[72:73], v[64:65], v[58:59]
	s_delay_alu instid0(VALU_DEP_2) | instskip(SKIP_2) | instid1(VALU_DEP_1)
	v_add_f64_e32 v[80:81], v[104:105], v[32:33]
	s_wait_loadcnt 0x0
	v_mul_f64_e32 v[16:17], v[20:21], v[0:1]
	v_fma_f64 v[34:35], v[18:19], v[2:3], -v[16:17]
	v_mul_f64_e32 v[2:3], v[20:21], v[2:3]
	s_delay_alu instid0(VALU_DEP_1) | instskip(SKIP_3) | instid1(VALU_DEP_2)
	v_fma_f64 v[106:107], v[18:19], v[0:1], v[2:3]
	scratch_load_b128 v[16:19], off, off offset:460 th:TH_LOAD_LU ; 16-byte Folded Reload
	v_mul_f64_e32 v[0:1], v[110:111], v[28:29]
	v_add_f64_e64 v[2:3], v[50:51], -v[44:45]
	v_fma_f64 v[74:75], v[108:109], v[30:31], -v[0:1]
	v_mul_f64_e32 v[0:1], v[110:111], v[30:31]
	s_delay_alu instid0(VALU_DEP_3) | instskip(NEXT) | instid1(VALU_DEP_3)
	v_mul_f64_e32 v[46:47], s[42:43], v[2:3]
	v_add_f64_e32 v[201:202], v[34:35], v[74:75]
	s_delay_alu instid0(VALU_DEP_3) | instskip(NEXT) | instid1(VALU_DEP_1)
	v_fma_f64 v[28:29], v[108:109], v[28:29], v[0:1]
	v_add_f64_e32 v[88:89], v[106:107], v[28:29]
	v_add_f64_e64 v[186:187], v[106:107], -v[28:29]
	s_wait_loadcnt 0x0
	v_mul_f64_e32 v[0:1], v[18:19], v[8:9]
	s_delay_alu instid0(VALU_DEP_1) | instskip(SKIP_2) | instid1(VALU_DEP_2)
	v_fma_f64 v[30:31], v[16:17], v[10:11], -v[0:1]
	v_mul_f64_e32 v[0:1], v[18:19], v[10:11]
	v_fma_f64 v[18:19], v[72:73], s[2:3], -v[205:206]
	v_fma_f64 v[16:17], v[16:17], v[8:9], v[0:1]
	v_mul_f64_e32 v[0:1], v[102:103], v[12:13]
	s_delay_alu instid0(VALU_DEP_1) | instskip(SKIP_1) | instid1(VALU_DEP_2)
	v_fma_f64 v[10:11], v[100:101], v[14:15], -v[0:1]
	v_mul_f64_e32 v[0:1], v[102:103], v[14:15]
	v_add_f64_e64 v[184:185], v[30:31], -v[10:11]
	s_delay_alu instid0(VALU_DEP_2) | instskip(SKIP_2) | instid1(VALU_DEP_3)
	v_fma_f64 v[12:13], v[100:101], v[12:13], v[0:1]
	v_mul_f64_e32 v[0:1], v[78:79], v[248:249]
	v_add_f64_e32 v[208:209], v[30:31], v[10:11]
	v_add_f64_e32 v[94:95], v[16:17], v[12:13]
	s_delay_alu instid0(VALU_DEP_3) | instskip(SKIP_3) | instid1(VALU_DEP_3)
	v_fma_f64 v[14:15], v[76:77], v[250:251], -v[0:1]
	v_mul_f64_e32 v[0:1], v[78:79], v[250:251]
	v_add_f64_e64 v[250:251], v[26:27], -v[48:49]
	v_add_f64_e64 v[242:243], v[16:17], -v[12:13]
	v_fma_f64 v[110:111], v[76:77], v[248:249], v[0:1]
	v_mul_f64_e32 v[0:1], v[118:119], v[4:5]
	v_add_f64_e32 v[76:77], v[84:85], v[96:97]
	s_delay_alu instid0(VALU_DEP_2) | instskip(SKIP_3) | instid1(VALU_DEP_4)
	v_fma_f64 v[78:79], v[116:117], v[6:7], -v[0:1]
	v_mul_f64_e32 v[0:1], v[118:119], v[6:7]
	v_mul_f64_e32 v[6:7], s[22:23], v[2:3]
	v_add_f64_e64 v[118:119], v[84:85], -v[96:97]
	v_add_f64_e64 v[240:241], v[14:15], -v[78:79]
	s_delay_alu instid0(VALU_DEP_4) | instskip(SKIP_3) | instid1(VALU_DEP_4)
	v_fma_f64 v[112:113], v[116:117], v[4:5], v[0:1]
	v_mul_f64_e32 v[0:1], v[70:71], v[252:253]
	v_add_f64_e64 v[116:117], v[24:25], -v[66:67]
	v_add_f64_e32 v[210:211], v[14:15], v[78:79]
	v_add_f64_e32 v[98:99], v[110:111], v[112:113]
	s_delay_alu instid0(VALU_DEP_4) | instskip(SKIP_4) | instid1(VALU_DEP_4)
	v_fma_f64 v[124:125], v[68:69], v[254:255], -v[0:1]
	v_mul_f64_e32 v[0:1], v[70:71], v[254:255]
	v_mul_f64_e32 v[141:142], s[28:29], v[116:117]
	v_add_f64_e32 v[70:71], v[24:25], v[66:67]
	v_add_f64_e64 v[254:255], v[34:35], -v[74:75]
	v_fma_f64 v[181:182], v[68:69], v[252:253], v[0:1]
	v_mul_f64_e32 v[0:1], v[122:123], v[244:245]
	v_add_f64_e32 v[68:69], v[54:55], v[56:57]
	s_delay_alu instid0(VALU_DEP_2) | instskip(SKIP_1) | instid1(VALU_DEP_3)
	v_fma_f64 v[100:101], v[120:121], v[246:247], -v[0:1]
	v_mul_f64_e32 v[0:1], v[122:123], v[246:247]
	v_mul_f64_e32 v[203:204], s[2:3], v[68:69]
	v_add_f64_e64 v[122:123], v[104:105], -v[32:33]
	s_delay_alu instid0(VALU_DEP_4) | instskip(NEXT) | instid1(VALU_DEP_4)
	v_add_f64_e64 v[246:247], v[124:125], -v[100:101]
	v_fma_f64 v[108:109], v[120:121], v[244:245], v[0:1]
	v_add_f64_e32 v[0:1], v[26:27], v[48:49]
	v_fma_f64 v[22:23], v[114:115], s[38:39], v[203:204]
	v_add_f64_e32 v[120:121], v[82:83], v[86:87]
	v_add_f64_e64 v[244:245], v[110:111], -v[112:113]
	v_add_f64_e32 v[132:133], v[124:125], v[100:101]
	v_add_f64_e32 v[102:103], v[181:182], v[108:109]
	v_fma_f64 v[4:5], v[0:1], s[10:11], -v[6:7]
	v_add_f64_e64 v[248:249], v[181:182], -v[108:109]
	s_delay_alu instid0(VALU_DEP_2) | instskip(NEXT) | instid1(VALU_DEP_1)
	v_add_f64_e32 v[4:5], v[236:237], v[4:5]
	v_add_f64_e32 v[18:19], v[18:19], v[4:5]
	;; [unrolled: 1-line block ×3, first 2 shown]
	s_delay_alu instid0(VALU_DEP_1) | instskip(SKIP_1) | instid1(VALU_DEP_2)
	v_mul_f64_e32 v[8:9], s[10:11], v[4:5]
	v_mul_f64_e32 v[252:253], s[20:21], v[4:5]
	v_fma_f64 v[20:21], v[250:251], s[22:23], v[8:9]
	s_delay_alu instid0(VALU_DEP_1) | instskip(NEXT) | instid1(VALU_DEP_1)
	v_add_f64_e32 v[20:21], v[238:239], v[20:21]
	v_add_f64_e32 v[20:21], v[22:23], v[20:21]
	v_fma_f64 v[22:23], v[76:77], s[12:13], -v[141:142]
	s_delay_alu instid0(VALU_DEP_1) | instskip(SKIP_3) | instid1(VALU_DEP_1)
	v_add_f64_e32 v[18:19], v[22:23], v[18:19]
	v_mul_f64_e32 v[22:23], s[12:13], v[70:71]
	scratch_store_b64 off, v[22:23], off offset:240 ; 8-byte Folded Spill
	v_fma_f64 v[22:23], v[118:119], s[28:29], v[22:23]
	v_add_f64_e32 v[20:21], v[22:23], v[20:21]
	v_mul_f64_e32 v[22:23], s[26:27], v[220:221]
	scratch_store_b64 off, v[22:23], off offset:256 ; 8-byte Folded Spill
	v_fma_f64 v[22:23], v[80:81], s[14:15], -v[22:23]
	s_delay_alu instid0(VALU_DEP_1) | instskip(SKIP_3) | instid1(VALU_DEP_1)
	v_add_f64_e32 v[18:19], v[22:23], v[18:19]
	v_mul_f64_e32 v[22:23], s[14:15], v[120:121]
	scratch_store_b64 off, v[22:23], off offset:264 ; 8-byte Folded Spill
	v_fma_f64 v[22:23], v[122:123], s[26:27], v[22:23]
	v_add_f64_e32 v[20:21], v[22:23], v[20:21]
	v_mul_f64_e32 v[22:23], s[34:35], v[254:255]
	scratch_store_b64 off, v[22:23], off offset:272 ; 8-byte Folded Spill
	;; [unrolled: 9-line block ×4, first 2 shown]
	v_fma_f64 v[22:23], v[98:99], s[20:21], -v[22:23]
	s_delay_alu instid0(VALU_DEP_1) | instskip(SKIP_3) | instid1(VALU_DEP_1)
	v_add_f64_e32 v[18:19], v[22:23], v[18:19]
	v_mul_f64_e32 v[22:23], s[20:21], v[210:211]
	scratch_store_b64 off, v[22:23], off offset:460 ; 8-byte Folded Spill
	v_fma_f64 v[22:23], v[244:245], s[36:37], v[22:23]
	v_add_f64_e32 v[20:21], v[22:23], v[20:21]
	s_wait_alu 0xfffe
	v_mul_f64_e32 v[22:23], s[48:49], v[246:247]
	scratch_store_b64 off, v[22:23], off offset:320 ; 8-byte Folded Spill
	v_fma_f64 v[22:23], v[102:103], s[24:25], -v[22:23]
	s_delay_alu instid0(VALU_DEP_1)
	v_add_f64_e32 v[128:129], v[22:23], v[18:19]
	v_mul_f64_e32 v[18:19], s[24:25], v[132:133]
	v_mul_f64_e32 v[22:23], s[12:13], v[68:69]
	scratch_store_b64 off, v[18:19], off offset:580 ; 8-byte Folded Spill
	v_fma_f64 v[18:19], v[248:249], s[48:49], v[18:19]
	scratch_store_b64 off, v[22:23], off offset:588 ; 8-byte Folded Spill
	v_fma_f64 v[22:23], v[114:115], s[28:29], v[22:23]
	v_add_f64_e32 v[130:131], v[18:19], v[20:21]
	v_fma_f64 v[18:19], v[0:1], s[20:21], -v[46:47]
	v_mul_f64_e32 v[20:21], s[28:29], v[126:127]
	s_delay_alu instid0(VALU_DEP_2) | instskip(SKIP_2) | instid1(VALU_DEP_1)
	v_add_f64_e32 v[18:19], v[236:237], v[18:19]
	scratch_store_b64 off, v[20:21], off offset:476 ; 8-byte Folded Spill
	v_fma_f64 v[20:21], v[72:73], s[12:13], -v[20:21]
	v_add_f64_e32 v[18:19], v[20:21], v[18:19]
	v_fma_f64 v[20:21], v[250:251], s[42:43], v[252:253]
	s_delay_alu instid0(VALU_DEP_1) | instskip(NEXT) | instid1(VALU_DEP_1)
	v_add_f64_e32 v[20:21], v[238:239], v[20:21]
	v_add_f64_e32 v[20:21], v[22:23], v[20:21]
	v_mul_f64_e32 v[22:23], s[44:45], v[116:117]
	scratch_store_b64 off, v[22:23], off offset:564 ; 8-byte Folded Spill
	v_fma_f64 v[22:23], v[76:77], s[14:15], -v[22:23]
	s_delay_alu instid0(VALU_DEP_1) | instskip(SKIP_3) | instid1(VALU_DEP_1)
	v_add_f64_e32 v[18:19], v[22:23], v[18:19]
	v_mul_f64_e32 v[22:23], s[14:15], v[70:71]
	scratch_store_b64 off, v[22:23], off offset:596 ; 8-byte Folded Spill
	v_fma_f64 v[22:23], v[118:119], s[44:45], v[22:23]
	v_add_f64_e32 v[20:21], v[22:23], v[20:21]
	v_mul_f64_e32 v[22:23], s[30:31], v[220:221]
	scratch_store_b64 off, v[22:23], off offset:572 ; 8-byte Folded Spill
	v_fma_f64 v[22:23], v[80:81], s[18:19], -v[22:23]
	s_delay_alu instid0(VALU_DEP_1) | instskip(SKIP_3) | instid1(VALU_DEP_1)
	v_add_f64_e32 v[22:23], v[22:23], v[18:19]
	v_mul_f64_e32 v[18:19], s[18:19], v[120:121]
	scratch_store_b64 off, v[18:19], off offset:620 ; 8-byte Folded Spill
	v_fma_f64 v[18:19], v[122:123], s[30:31], v[18:19]
	v_add_f64_e32 v[20:21], v[18:19], v[20:21]
	v_mul_f64_e32 v[18:19], s[50:51], v[254:255]
	scratch_store_b64 off, v[18:19], off offset:604 ; 8-byte Folded Spill
	v_fma_f64 v[36:37], v[88:89], s[10:11], -v[18:19]
	v_mul_f64_e32 v[18:19], s[10:11], v[201:202]
	s_delay_alu instid0(VALU_DEP_2) | instskip(SKIP_4) | instid1(VALU_DEP_3)
	v_add_f64_e32 v[36:37], v[36:37], v[22:23]
	scratch_store_b64 off, v[18:19], off offset:628 ; 8-byte Folded Spill
	v_fma_f64 v[38:39], v[186:187], s[50:51], v[18:19]
	v_mul_f64_e32 v[18:19], s[40:41], v[184:185]
	v_mul_f64_e32 v[22:23], s[46:47], v[246:247]
	v_add_f64_e32 v[20:21], v[38:39], v[20:21]
	s_delay_alu instid0(VALU_DEP_3)
	v_fma_f64 v[38:39], v[94:95], s[24:25], -v[18:19]
	scratch_store_b64 off, v[18:19], off offset:612 ; 8-byte Folded Spill
	v_mul_f64_e32 v[18:19], s[38:39], v[240:241]
	global_wb scope:SCOPE_SE
	s_wait_storecnt 0x0
	s_barrier_signal -1
	s_barrier_wait -1
	global_inv scope:SCOPE_SE
	v_add_f64_e32 v[36:37], v[38:39], v[36:37]
	v_mul_f64_e32 v[38:39], s[24:25], v[208:209]
	s_delay_alu instid0(VALU_DEP_1) | instskip(NEXT) | instid1(VALU_DEP_1)
	v_fma_f64 v[40:41], v[242:243], s[40:41], v[38:39]
	v_add_f64_e32 v[20:21], v[40:41], v[20:21]
	v_fma_f64 v[40:41], v[98:99], s[2:3], -v[18:19]
	s_delay_alu instid0(VALU_DEP_1) | instskip(SKIP_1) | instid1(VALU_DEP_1)
	v_add_f64_e32 v[40:41], v[40:41], v[36:37]
	v_mul_f64_e32 v[36:37], s[2:3], v[210:211]
	v_fma_f64 v[42:43], v[244:245], s[38:39], v[36:37]
	s_delay_alu instid0(VALU_DEP_1) | instskip(SKIP_1) | instid1(VALU_DEP_1)
	v_add_f64_e32 v[42:43], v[42:43], v[20:21]
	v_fma_f64 v[20:21], v[102:103], s[16:17], -v[22:23]
	v_add_f64_e32 v[60:61], v[20:21], v[40:41]
	v_mul_f64_e32 v[20:21], s[16:17], v[132:133]
	s_delay_alu instid0(VALU_DEP_1) | instskip(NEXT) | instid1(VALU_DEP_1)
	v_fma_f64 v[40:41], v[248:249], s[46:47], v[20:21]
	v_add_f64_e32 v[62:63], v[40:41], v[42:43]
	s_and_saveexec_b32 s33, s0
	s_cbranch_execz .LBB0_25
; %bb.24:
	v_mul_f64_e32 v[40:41], s[42:43], v[250:251]
	s_clause 0x3
	scratch_store_b64 off, v[44:45], off offset:692
	scratch_store_b64 off, v[12:13], off offset:700
	scratch_store_b64 off, v[106:107], off offset:716
	scratch_store_b64 off, v[104:105], off offset:724
	v_mul_f64_e32 v[104:105], s[28:29], v[250:251]
	s_clause 0x5
	scratch_store_b64 off, v[205:206], off offset:996
	scratch_store_b64 off, v[141:142], off offset:940
	;; [unrolled: 1-line block ×6, first 2 shown]
	s_mov_b32 s1, 0xbfeec746
	s_mov_b32 s0, s30
	v_mul_f64_e32 v[106:107], s[38:39], v[250:251]
	v_dual_mov_b32 v141, v203 :: v_dual_mov_b32 v142, v204
	v_dual_mov_b32 v204, v254 :: v_dual_mov_b32 v205, v255
	s_clause 0x4
	scratch_store_b64 off, v[54:55], off offset:740
	scratch_store_b64 off, v[24:25], off offset:748
	;; [unrolled: 1-line block ×4, first 2 shown]
	scratch_store_b128 off, v[212:215], off offset:652
	v_mul_f64_e32 v[38:39], s[38:39], v[2:3]
	s_clause 0x3
	scratch_store_b64 off, v[34:35], off offset:764
	scratch_store_b64 off, v[16:17], off offset:772
	;; [unrolled: 1-line block ×4, first 2 shown]
	v_mul_f64_e32 v[34:35], s[40:41], v[2:3]
	scratch_store_b64 off, v[28:29], off offset:732 ; 8-byte Folded Spill
	s_mov_b32 s53, 0x3fefdd0d
	s_mov_b32 s52, s38
	v_mul_f64_e32 v[206:207], s[38:39], v[116:117]
	s_mov_b32 s55, 0x3fe9895b
	s_mov_b32 s54, s28
	s_wait_alu 0xfffe
	v_mul_f64_e32 v[110:111], s[0:1], v[248:249]
	v_mul_f64_e32 v[191:192], s[54:55], v[122:123]
	;; [unrolled: 1-line block ×3, first 2 shown]
	v_add_f64_e64 v[42:43], v[252:253], -v[40:41]
	v_mul_f64_e32 v[40:41], s[20:21], v[0:1]
	v_mul_f64_e32 v[252:253], s[40:41], v[250:251]
	;; [unrolled: 1-line block ×4, first 2 shown]
	v_fma_f64 v[18:19], v[4:5], s[12:13], v[104:105]
	v_fma_f64 v[104:105], v[4:5], s[12:13], -v[104:105]
	scratch_store_b64 off, v[112:113], off offset:1132 ; 8-byte Folded Spill
	v_mul_f64_e32 v[112:113], s[50:51], v[244:245]
	scratch_store_b64 off, v[66:67], off offset:1084 ; 8-byte Folded Spill
	v_mul_f64_e32 v[66:67], s[26:27], v[184:185]
	;; [unrolled: 2-line block ×3, first 2 shown]
	v_fma_f64 v[48:49], v[4:5], s[2:3], -v[106:107]
	v_fma_f64 v[106:107], v[4:5], s[2:3], v[106:107]
	scratch_store_b64 off, v[14:15], off offset:1116 ; 8-byte Folded Spill
	v_mul_f64_e32 v[14:15], s[40:41], v[186:187]
	v_fma_f64 v[10:11], v[0:1], s[24:25], -v[34:35]
	v_fma_f64 v[34:35], v[0:1], s[24:25], v[34:35]
	v_add_f64_e32 v[44:45], v[40:41], v[46:47]
	v_mul_f64_e32 v[40:41], s[22:23], v[250:251]
	v_mul_f64_e32 v[46:47], s[46:47], v[250:251]
	v_fma_f64 v[24:25], v[4:5], s[24:25], v[252:253]
	v_add_f64_e32 v[18:19], v[238:239], v[18:19]
	s_clause 0x1
	scratch_store_b64 off, v[36:37], off offset:924
	scratch_store_b64 off, v[22:23], off offset:908
	v_mul_f64_e32 v[22:23], s[28:29], v[2:3]
	v_fma_f64 v[252:253], v[4:5], s[24:25], -v[252:253]
	v_mul_f64_e32 v[36:37], s[46:47], v[2:3]
	v_add_f64_e64 v[12:13], v[8:9], -v[40:41]
	v_mul_f64_e32 v[40:41], s[10:11], v[0:1]
	v_fma_f64 v[54:55], v[4:5], s[16:17], v[46:47]
	scratch_store_b64 off, v[18:19], off offset:820 ; 8-byte Folded Spill
	v_fma_f64 v[46:47], v[4:5], s[16:17], -v[46:47]
	v_fma_f64 v[8:9], v[0:1], s[2:3], -v[38:39]
	;; [unrolled: 1-line block ×3, first 2 shown]
	v_fma_f64 v[22:23], v[0:1], s[12:13], v[22:23]
	v_fma_f64 v[16:17], v[0:1], s[16:17], -v[36:37]
	v_fma_f64 v[36:37], v[0:1], s[16:17], v[36:37]
	v_fma_f64 v[38:39], v[0:1], s[2:3], v[38:39]
	v_add_f64_e32 v[6:7], v[40:41], v[6:7]
	v_mul_f64_e32 v[40:41], s[26:27], v[250:251]
	v_mul_f64_e32 v[250:251], s[0:1], v[250:251]
	v_add_f64_e32 v[54:55], v[238:239], v[54:55]
	v_add_f64_e32 v[8:9], v[236:237], v[8:9]
	v_add_f64_e32 v[18:19], v[236:237], v[30:31]
	v_add_f64_e32 v[16:17], v[236:237], v[16:17]
	v_add_f64_e32 v[30:31], v[236:237], v[6:7]
	v_fma_f64 v[254:255], v[4:5], s[14:15], v[40:41]
	v_fma_f64 v[40:41], v[4:5], s[14:15], -v[40:41]
	v_fma_f64 v[20:21], v[4:5], s[18:19], v[250:251]
	v_fma_f64 v[4:5], v[4:5], s[18:19], -v[250:251]
	v_mul_f64_e32 v[250:251], s[26:27], v[2:3]
	v_mul_f64_e32 v[2:3], s[0:1], v[2:3]
	scratch_store_b64 off, v[18:19], off offset:812 ; 8-byte Folded Spill
	v_add_f64_e32 v[18:19], v[238:239], v[104:105]
	v_add_f64_e32 v[6:7], v[238:239], v[24:25]
	scratch_store_b64 off, v[8:9], off offset:836 ; 8-byte Folded Spill
	v_add_f64_e32 v[8:9], v[238:239], v[42:43]
	v_add_f64_e32 v[24:25], v[236:237], v[34:35]
	v_fma_f64 v[28:29], v[0:1], s[14:15], -v[250:251]
	v_fma_f64 v[250:251], v[0:1], s[14:15], v[250:251]
	v_fma_f64 v[64:65], v[0:1], s[18:19], -v[2:3]
	v_fma_f64 v[0:1], v[0:1], s[18:19], v[2:3]
	scratch_store_b64 off, v[6:7], off offset:852 ; 8-byte Folded Spill
	v_add_f64_e32 v[2:3], v[238:239], v[50:51]
	scratch_store_b64 off, v[18:19], off offset:876 ; 8-byte Folded Spill
	v_add_f64_e32 v[18:19], v[238:239], v[106:107]
	v_add_f64_e32 v[6:7], v[236:237], v[10:11]
	;; [unrolled: 1-line block ×3, first 2 shown]
	v_mul_f64_e32 v[252:253], s[52:53], v[248:249]
	v_mul_f64_e32 v[50:51], s[30:31], v[242:243]
	v_add_f64_e32 v[28:29], v[236:237], v[28:29]
	v_add_f64_e32 v[250:251], v[236:237], v[250:251]
	scratch_store_b64 off, v[2:3], off offset:796 ; 8-byte Folded Spill
	v_add_f64_e32 v[2:3], v[236:237], v[26:27]
	v_add_f64_e32 v[26:27], v[238:239], v[46:47]
	s_clause 0x1
	scratch_store_b64 off, v[18:19], off offset:828
	scratch_store_b64 off, v[6:7], off offset:844
	v_add_f64_e32 v[6:7], v[238:239], v[20:21]
	v_add_f64_e32 v[46:47], v[236:237], v[22:23]
	;; [unrolled: 1-line block ×4, first 2 shown]
	v_mul_f64_e32 v[20:21], s[46:47], v[118:119]
	v_mul_f64_e32 v[12:13], s[52:53], v[246:247]
	s_clause 0x1
	scratch_store_b64 off, v[2:3], off offset:804
	scratch_store_b64 off, v[26:27], off offset:868
	v_add_f64_e32 v[26:27], v[236:237], v[36:37]
	v_add_f64_e32 v[2:3], v[238:239], v[254:255]
	;; [unrolled: 1-line block ×3, first 2 shown]
	scratch_store_b64 off, v[6:7], off offset:892 ; 8-byte Folded Spill
	v_add_f64_e32 v[6:7], v[236:237], v[64:65]
	v_add_f64_e32 v[40:41], v[236:237], v[38:39]
	;; [unrolled: 1-line block ×3, first 2 shown]
	scratch_store_b64 off, v[26:27], off offset:860 ; 8-byte Folded Spill
	v_add_f64_e32 v[26:27], v[238:239], v[48:49]
	v_add_f64_e32 v[238:239], v[238:239], v[4:5]
	v_mul_f64_e32 v[4:5], s[48:49], v[114:115]
	scratch_store_b64 off, v[6:7], off offset:884 ; 8-byte Folded Spill
	v_mul_f64_e32 v[6:7], s[48:49], v[126:127]
	v_fma_f64 v[0:1], v[68:69], s[24:25], v[4:5]
	v_fma_f64 v[4:5], v[68:69], s[24:25], -v[4:5]
	s_delay_alu instid0(VALU_DEP_2) | instskip(NEXT) | instid1(VALU_DEP_2)
	v_add_f64_e32 v[0:1], v[0:1], v[2:3]
	v_add_f64_e32 v[4:5], v[4:5], v[254:255]
	v_mul_f64_e32 v[254:255], s[40:41], v[204:205]
	v_fma_f64 v[2:3], v[72:73], s[24:25], -v[6:7]
	v_fma_f64 v[6:7], v[72:73], s[24:25], v[6:7]
	s_delay_alu instid0(VALU_DEP_2) | instskip(SKIP_2) | instid1(VALU_DEP_4)
	v_add_f64_e32 v[2:3], v[2:3], v[28:29]
	v_fma_f64 v[28:29], v[70:71], s[16:17], v[20:21]
	v_fma_f64 v[20:21], v[70:71], s[16:17], -v[20:21]
	v_add_f64_e32 v[6:7], v[6:7], v[250:251]
	v_mul_f64_e32 v[250:251], s[38:39], v[122:123]
	s_delay_alu instid0(VALU_DEP_4) | instskip(SKIP_2) | instid1(VALU_DEP_2)
	v_add_f64_e32 v[0:1], v[28:29], v[0:1]
	v_mul_f64_e32 v[28:29], s[46:47], v[116:117]
	v_add_f64_e32 v[4:5], v[20:21], v[4:5]
	v_fma_f64 v[34:35], v[76:77], s[16:17], -v[28:29]
	v_fma_f64 v[20:21], v[76:77], s[16:17], v[28:29]
	v_mul_f64_e32 v[28:29], s[36:37], v[126:127]
	s_delay_alu instid0(VALU_DEP_3) | instskip(SKIP_1) | instid1(VALU_DEP_4)
	v_add_f64_e32 v[2:3], v[34:35], v[2:3]
	v_mul_f64_e32 v[34:35], s[50:51], v[122:123]
	v_add_f64_e32 v[6:7], v[20:21], v[6:7]
	s_delay_alu instid0(VALU_DEP_2) | instskip(SKIP_3) | instid1(VALU_DEP_4)
	v_fma_f64 v[36:37], v[120:121], s[10:11], v[34:35]
	v_fma_f64 v[20:21], v[120:121], s[10:11], -v[34:35]
	v_fma_f64 v[34:35], v[72:73], s[20:21], -v[28:29]
	v_fma_f64 v[28:29], v[72:73], s[20:21], v[28:29]
	v_add_f64_e32 v[0:1], v[36:37], v[0:1]
	v_mul_f64_e32 v[36:37], s[50:51], v[220:221]
	v_add_f64_e32 v[4:5], v[20:21], v[4:5]
	v_add_f64_e32 v[16:17], v[34:35], v[16:17]
	v_mul_f64_e32 v[34:35], s[38:39], v[118:119]
	s_delay_alu instid0(VALU_DEP_4) | instskip(SKIP_1) | instid1(VALU_DEP_3)
	v_fma_f64 v[38:39], v[80:81], s[10:11], -v[36:37]
	v_fma_f64 v[20:21], v[80:81], s[10:11], v[36:37]
	v_fma_f64 v[36:37], v[70:71], s[2:3], v[34:35]
	v_fma_f64 v[34:35], v[70:71], s[2:3], -v[34:35]
	s_delay_alu instid0(VALU_DEP_4) | instskip(SKIP_2) | instid1(VALU_DEP_2)
	v_add_f64_e32 v[2:3], v[38:39], v[2:3]
	v_mul_f64_e32 v[38:39], s[28:29], v[186:187]
	v_add_f64_e32 v[6:7], v[20:21], v[6:7]
	v_fma_f64 v[42:43], v[201:202], s[12:13], v[38:39]
	v_fma_f64 v[20:21], v[201:202], s[12:13], -v[38:39]
	v_mul_f64_e32 v[38:39], s[26:27], v[122:123]
	s_delay_alu instid0(VALU_DEP_3) | instskip(SKIP_1) | instid1(VALU_DEP_4)
	v_add_f64_e32 v[0:1], v[42:43], v[0:1]
	v_mul_f64_e32 v[42:43], s[28:29], v[204:205]
	v_add_f64_e32 v[4:5], v[20:21], v[4:5]
	s_delay_alu instid0(VALU_DEP_2) | instskip(SKIP_2) | instid1(VALU_DEP_3)
	v_fma_f64 v[44:45], v[88:89], s[12:13], -v[42:43]
	v_fma_f64 v[20:21], v[88:89], s[12:13], v[42:43]
	v_mul_f64_e32 v[42:43], s[14:15], v[80:81]
	v_add_f64_e32 v[2:3], v[44:45], v[2:3]
	v_mul_f64_e32 v[44:45], s[36:37], v[242:243]
	s_delay_alu instid0(VALU_DEP_4) | instskip(NEXT) | instid1(VALU_DEP_2)
	v_add_f64_e32 v[6:7], v[20:21], v[6:7]
	v_fma_f64 v[48:49], v[208:209], s[20:21], v[44:45]
	v_fma_f64 v[20:21], v[208:209], s[20:21], -v[44:45]
	v_mul_f64_e32 v[44:45], s[34:35], v[186:187]
	s_delay_alu instid0(VALU_DEP_3) | instskip(SKIP_1) | instid1(VALU_DEP_4)
	v_add_f64_e32 v[0:1], v[48:49], v[0:1]
	v_mul_f64_e32 v[48:49], s[36:37], v[184:185]
	v_add_f64_e32 v[4:5], v[20:21], v[4:5]
	s_delay_alu instid0(VALU_DEP_2) | instskip(SKIP_2) | instid1(VALU_DEP_3)
	v_fma_f64 v[64:65], v[94:95], s[20:21], -v[48:49]
	v_fma_f64 v[20:21], v[94:95], s[20:21], v[48:49]
	v_mul_f64_e32 v[48:49], s[16:17], v[88:89]
	v_add_f64_e32 v[2:3], v[64:65], v[2:3]
	v_mul_f64_e32 v[64:65], s[0:1], v[244:245]
	s_delay_alu instid0(VALU_DEP_4) | instskip(NEXT) | instid1(VALU_DEP_2)
	v_add_f64_e32 v[6:7], v[20:21], v[6:7]
	v_fma_f64 v[104:105], v[210:211], s[18:19], v[64:65]
	v_fma_f64 v[20:21], v[210:211], s[18:19], -v[64:65]
	v_dual_mov_b32 v64, v108 :: v_dual_mov_b32 v65, v109
	v_dual_mov_b32 v109, v101 :: v_dual_mov_b32 v108, v100
	;; [unrolled: 1-line block ×3, first 2 shown]
	v_mul_f64_e32 v[182:183], s[34:35], v[126:127]
	v_add_f64_e32 v[0:1], v[104:105], v[0:1]
	v_mul_f64_e32 v[104:105], s[0:1], v[240:241]
	v_add_f64_e32 v[4:5], v[20:21], v[4:5]
	s_delay_alu instid0(VALU_DEP_2) | instskip(SKIP_2) | instid1(VALU_DEP_3)
	v_fma_f64 v[106:107], v[98:99], s[18:19], -v[104:105]
	v_fma_f64 v[20:21], v[98:99], s[18:19], v[104:105]
	v_mul_f64_e32 v[104:105], s[40:41], v[244:245]
	v_add_f64_e32 v[106:107], v[106:107], v[2:3]
	v_fma_f64 v[2:3], v[132:133], s[2:3], v[252:253]
	s_delay_alu instid0(VALU_DEP_4) | instskip(SKIP_2) | instid1(VALU_DEP_4)
	v_add_f64_e32 v[20:21], v[20:21], v[6:7]
	v_fma_f64 v[6:7], v[132:133], s[2:3], -v[252:253]
	v_mul_f64_e32 v[252:253], s[54:55], v[220:221]
	v_add_f64_e32 v[2:3], v[2:3], v[0:1]
	v_fma_f64 v[0:1], v[102:103], s[2:3], -v[12:13]
	v_fma_f64 v[12:13], v[102:103], s[2:3], v[12:13]
	s_delay_alu instid0(VALU_DEP_2)
	v_add_f64_e32 v[0:1], v[0:1], v[106:107]
	v_mul_f64_e32 v[106:107], s[26:27], v[242:243]
	scratch_store_b128 off, v[0:3], off offset:948 ; 16-byte Folded Spill
	v_add_f64_e32 v[0:1], v[12:13], v[20:21]
	v_mul_f64_e32 v[12:13], s[36:37], v[114:115]
	v_add_f64_e32 v[2:3], v[6:7], v[4:5]
	v_mul_f64_e32 v[5:6], s[30:31], v[116:117]
	v_mov_b32_e32 v7, v179
	v_mul_f64_e32 v[178:179], s[50:51], v[248:249]
	v_mov_b32_e32 v4, v52
	v_mov_b32_e32 v52, v226
	v_fma_f64 v[20:21], v[68:69], s[20:21], v[12:13]
	s_clause 0x3
	scratch_store_b128 off, v[0:3], off offset:964
	scratch_store_b64 off, v[84:85], off offset:1164
	scratch_store_b64 off, v[82:83], off offset:1156
	scratch_store_b128 off, v[90:93], off offset:676
	v_dual_mov_b32 v90, v227 :: v_dual_mov_b32 v91, v228
	v_dual_mov_b32 v92, v229 :: v_dual_mov_b32 v93, v230
	v_mov_b32_e32 v230, v139
	v_mul_f64_e32 v[226:227], s[42:43], v[122:123]
	v_dual_mov_b32 v82, v193 :: v_dual_mov_b32 v83, v194
	v_dual_mov_b32 v84, v195 :: v_dual_mov_b32 v85, v196
	v_mul_f64_e32 v[194:195], s[26:27], v[204:205]
	v_mul_f64_e32 v[228:229], s[40:41], v[240:241]
	v_fma_f64 v[12:13], v[68:69], s[20:21], -v[12:13]
	v_add_f64_e32 v[20:21], v[20:21], v[54:55]
	v_mul_f64_e32 v[54:55], s[0:1], v[246:247]
	s_delay_alu instid0(VALU_DEP_2) | instskip(SKIP_1) | instid1(VALU_DEP_1)
	v_add_f64_e32 v[20:21], v[36:37], v[20:21]
	v_fma_f64 v[36:37], v[76:77], s[2:3], -v[206:207]
	v_add_f64_e32 v[16:17], v[36:37], v[16:17]
	v_fma_f64 v[36:37], v[120:121], s[12:13], v[191:192]
	s_delay_alu instid0(VALU_DEP_1) | instskip(SKIP_1) | instid1(VALU_DEP_1)
	v_add_f64_e32 v[20:21], v[36:37], v[20:21]
	v_fma_f64 v[36:37], v[80:81], s[12:13], -v[252:253]
	v_add_f64_e32 v[16:17], v[36:37], v[16:17]
	v_fma_f64 v[36:37], v[201:202], s[24:25], v[14:15]
	s_delay_alu instid0(VALU_DEP_1) | instskip(SKIP_1) | instid1(VALU_DEP_1)
	;; [unrolled: 5-line block ×4, first 2 shown]
	v_add_f64_e32 v[20:21], v[36:37], v[20:21]
	v_fma_f64 v[36:37], v[98:99], s[10:11], -v[86:87]
	v_add_f64_e32 v[16:17], v[36:37], v[16:17]
	v_fma_f64 v[36:37], v[132:133], s[18:19], v[110:111]
	s_delay_alu instid0(VALU_DEP_1) | instskip(SKIP_2) | instid1(VALU_DEP_2)
	v_add_f64_e32 v[2:3], v[36:37], v[20:21]
	v_fma_f64 v[20:21], v[102:103], s[18:19], -v[54:55]
	v_mul_f64_e32 v[36:37], s[12:13], v[76:77]
	v_add_f64_e32 v[0:1], v[20:21], v[16:17]
	v_mul_f64_e32 v[16:17], s[48:49], v[220:221]
	scratch_store_b128 off, v[0:3], off offset:980 ; 16-byte Folded Spill
	v_mul_f64_e32 v[0:1], s[22:23], v[114:115]
	scratch_store_b64 off, v[124:125], off offset:1148 ; 8-byte Folded Spill
	v_dual_mov_b32 v124, v201 :: v_dual_mov_b32 v125, v202
	s_delay_alu instid0(VALU_DEP_1) | instskip(SKIP_3) | instid1(VALU_DEP_2)
	v_fma_f64 v[14:15], v[124:125], s[24:25], -v[14:15]
	scratch_store_b64 off, v[0:1], off offset:1004 ; 8-byte Folded Spill
	v_fma_f64 v[20:21], v[68:69], s[10:11], -v[0:1]
	v_mul_f64_e32 v[0:1], s[22:23], v[126:127]
	v_add_f64_e32 v[10:11], v[20:21], v[10:11]
	scratch_store_b64 off, v[0:1], off offset:1012 ; 8-byte Folded Spill
	v_fma_f64 v[20:21], v[72:73], s[10:11], v[0:1]
	v_mul_f64_e32 v[0:1], s[42:43], v[118:119]
	s_delay_alu instid0(VALU_DEP_2) | instskip(NEXT) | instid1(VALU_DEP_2)
	v_add_f64_e32 v[20:21], v[20:21], v[24:25]
	v_fma_f64 v[24:25], v[70:71], s[20:21], -v[0:1]
	scratch_store_b64 off, v[0:1], off offset:1036 ; 8-byte Folded Spill
	v_mul_f64_e32 v[0:1], s[38:39], v[220:221]
	v_add_f64_e32 v[10:11], v[24:25], v[10:11]
	v_fma_f64 v[24:25], v[76:77], s[20:21], v[189:190]
	scratch_store_b64 off, v[0:1], off offset:1044 ; 8-byte Folded Spill
	v_add_f64_e32 v[20:21], v[24:25], v[20:21]
	v_fma_f64 v[24:25], v[120:121], s[2:3], -v[250:251]
	s_delay_alu instid0(VALU_DEP_1) | instskip(SKIP_2) | instid1(VALU_DEP_2)
	v_add_f64_e32 v[10:11], v[24:25], v[10:11]
	v_fma_f64 v[24:25], v[80:81], s[2:3], v[0:1]
	v_mul_f64_e32 v[0:1], s[0:1], v[186:187]
	v_add_f64_e32 v[20:21], v[24:25], v[20:21]
	scratch_store_b64 off, v[0:1], off offset:1052 ; 8-byte Folded Spill
	v_fma_f64 v[24:25], v[201:202], s[18:19], -v[0:1]
	v_mul_f64_e32 v[0:1], s[0:1], v[204:205]
	s_delay_alu instid0(VALU_DEP_2)
	v_add_f64_e32 v[10:11], v[24:25], v[10:11]
	scratch_store_b64 off, v[0:1], off offset:1060 ; 8-byte Folded Spill
	v_fma_f64 v[24:25], v[88:89], s[18:19], v[0:1]
	v_mul_f64_e32 v[0:1], s[28:29], v[242:243]
	s_clause 0x2
	scratch_store_b32 off, v180, off offset:644
	scratch_store_b32 off, v176, off offset:636
	;; [unrolled: 1-line block ×3, first 2 shown]
	v_mov_b32_e32 v235, v138
	v_mul_f64_e32 v[138:139], s[54:55], v[244:245]
	v_mul_f64_e32 v[180:181], s[50:51], v[246:247]
	v_add_f64_e32 v[20:21], v[24:25], v[20:21]
	scratch_store_b64 off, v[0:1], off offset:1076 ; 8-byte Folded Spill
	v_fma_f64 v[24:25], v[208:209], s[12:13], -v[0:1]
	v_mul_f64_e32 v[0:1], s[28:29], v[184:185]
	s_delay_alu instid0(VALU_DEP_2) | instskip(SKIP_3) | instid1(VALU_DEP_2)
	v_add_f64_e32 v[10:11], v[24:25], v[10:11]
	scratch_store_b64 off, v[0:1], off offset:1068 ; 8-byte Folded Spill
	v_fma_f64 v[24:25], v[94:95], s[12:13], v[0:1]
	v_mul_f64_e32 v[0:1], s[46:47], v[244:245]
	v_add_f64_e32 v[20:21], v[24:25], v[20:21]
	scratch_store_b64 off, v[0:1], off offset:1092 ; 8-byte Folded Spill
	v_fma_f64 v[24:25], v[210:211], s[16:17], -v[0:1]
	v_mul_f64_e32 v[0:1], s[46:47], v[240:241]
	s_delay_alu instid0(VALU_DEP_2) | instskip(SKIP_3) | instid1(VALU_DEP_2)
	v_add_f64_e32 v[10:11], v[24:25], v[10:11]
	scratch_store_b64 off, v[0:1], off offset:1100 ; 8-byte Folded Spill
	v_fma_f64 v[24:25], v[98:99], s[16:17], v[0:1]
	v_mul_f64_e32 v[0:1], s[26:27], v[248:249]
	v_add_f64_e32 v[20:21], v[24:25], v[20:21]
	scratch_store_b64 off, v[0:1], off offset:1108 ; 8-byte Folded Spill
	v_fma_f64 v[24:25], v[132:133], s[14:15], -v[0:1]
	v_mul_f64_e32 v[0:1], s[26:27], v[246:247]
	s_delay_alu instid0(VALU_DEP_2) | instskip(NEXT) | instid1(VALU_DEP_2)
	v_add_f64_e32 v[2:3], v[24:25], v[10:11]
	v_fma_f64 v[10:11], v[102:103], s[14:15], v[0:1]
	scratch_store_b64 off, v[0:1], off offset:1172 ; 8-byte Folded Spill
	v_mul_f64_e32 v[24:25], s[28:29], v[118:119]
	v_add_f64_e32 v[0:1], v[10:11], v[20:21]
	v_mul_f64_e32 v[20:21], s[2:3], v[72:73]
	v_mul_f64_e32 v[10:11], s[38:39], v[114:115]
	scratch_store_b128 off, v[0:3], off offset:1020 ; 16-byte Folded Spill
	scratch_load_b64 v[0:1], off, off offset:996 th:TH_LOAD_LU ; 8-byte Folded Reload
	v_add_f64_e64 v[10:11], v[141:142], -v[10:11]
	v_mul_f64_e32 v[141:142], s[42:43], v[204:205]
	v_dual_mov_b32 v2, v220 :: v_dual_mov_b32 v3, v221
	v_mul_f64_e32 v[220:221], s[28:29], v[248:249]
	s_delay_alu instid0(VALU_DEP_4)
	v_add_f64_e32 v[10:11], v[10:11], v[22:23]
	v_mul_f64_e32 v[22:23], s[18:19], v[94:95]
	s_wait_loadcnt 0x0
	v_add_f64_e32 v[20:21], v[20:21], v[0:1]
	scratch_load_b64 v[0:1], off, off offset:240 th:TH_LOAD_LU ; 8-byte Folded Reload
	v_add_f64_e32 v[20:21], v[20:21], v[30:31]
	v_mul_f64_e32 v[30:31], s[20:21], v[98:99]
	s_wait_loadcnt 0x0
	v_add_f64_e64 v[24:25], v[0:1], -v[24:25]
	scratch_load_b64 v[0:1], off, off offset:940 th:TH_LOAD_LU ; 8-byte Folded Reload
	v_add_f64_e32 v[10:11], v[24:25], v[10:11]
	v_mul_f64_e32 v[24:25], s[36:37], v[244:245]
	s_wait_loadcnt 0x0
	v_add_f64_e32 v[36:37], v[36:37], v[0:1]
	scratch_load_b64 v[0:1], off, off offset:264 th:TH_LOAD_LU ; 8-byte Folded Reload
	v_add_f64_e32 v[20:21], v[36:37], v[20:21]
	v_mul_f64_e32 v[36:37], s[48:49], v[248:249]
	s_wait_loadcnt 0x0
	v_add_f64_e64 v[38:39], v[0:1], -v[38:39]
	scratch_load_b64 v[0:1], off, off offset:256 th:TH_LOAD_LU ; 8-byte Folded Reload
	v_add_f64_e32 v[10:11], v[38:39], v[10:11]
	v_mul_f64_e32 v[38:39], s[18:19], v[80:81]
	s_wait_loadcnt 0x0
	v_add_f64_e32 v[42:43], v[42:43], v[0:1]
	scratch_load_b64 v[0:1], off, off offset:288 th:TH_LOAD_LU ; 8-byte Folded Reload
	v_add_f64_e32 v[20:21], v[42:43], v[20:21]
	s_wait_loadcnt 0x0
	v_add_f64_e64 v[44:45], v[0:1], -v[44:45]
	scratch_load_b64 v[0:1], off, off offset:272 th:TH_LOAD_LU ; 8-byte Folded Reload
	v_add_f64_e32 v[10:11], v[44:45], v[10:11]
	s_wait_loadcnt 0x0
	v_add_f64_e32 v[48:49], v[48:49], v[0:1]
	scratch_load_b64 v[0:1], off, off offset:304 th:TH_LOAD_LU ; 8-byte Folded Reload
	v_add_f64_e32 v[20:21], v[48:49], v[20:21]
	v_mul_f64_e32 v[48:49], s[10:11], v[88:89]
	s_wait_loadcnt 0x0
	v_add_f64_e64 v[50:51], v[0:1], -v[50:51]
	scratch_load_b64 v[0:1], off, off offset:280 th:TH_LOAD_LU ; 8-byte Folded Reload
	v_add_f64_e32 v[10:11], v[50:51], v[10:11]
	v_mul_f64_e32 v[50:51], s[40:41], v[242:243]
	s_wait_loadcnt 0x0
	v_add_f64_e32 v[22:23], v[22:23], v[0:1]
	scratch_load_b64 v[0:1], off, off offset:460 th:TH_LOAD_LU ; 8-byte Folded Reload
	v_add_f64_e32 v[20:21], v[22:23], v[20:21]
	v_mul_f64_e32 v[22:23], s[24:25], v[102:103]
	s_wait_loadcnt 0x0
	v_add_f64_e64 v[24:25], v[0:1], -v[24:25]
	scratch_load_b64 v[0:1], off, off offset:296 th:TH_LOAD_LU ; 8-byte Folded Reload
	v_add_f64_e32 v[10:11], v[24:25], v[10:11]
	v_mul_f64_e32 v[24:25], s[14:15], v[76:77]
	;; [unrolled: 10-line block ×3, first 2 shown]
	v_mul_f64_e32 v[36:37], s[50:51], v[186:187]
	s_wait_loadcnt 0x0
	v_add_f64_e32 v[22:23], v[22:23], v[0:1]
	scratch_load_b64 v[0:1], off, off offset:588 th:TH_LOAD_LU ; 8-byte Folded Reload
	v_add_f64_e32 v[42:43], v[22:23], v[20:21]
	v_mul_f64_e32 v[20:21], s[12:13], v[72:73]
	v_mul_f64_e32 v[22:23], s[44:45], v[118:119]
	s_wait_loadcnt 0x0
	v_add_f64_e64 v[10:11], v[0:1], -v[10:11]
	scratch_load_b64 v[0:1], off, off offset:476 th:TH_LOAD_LU ; 8-byte Folded Reload
	v_add_f64_e32 v[8:9], v[10:11], v[8:9]
	s_wait_loadcnt 0x0
	v_add_f64_e32 v[20:21], v[20:21], v[0:1]
	scratch_load_b64 v[0:1], off, off offset:596 th:TH_LOAD_LU ; 8-byte Folded Reload
	v_add_f64_e32 v[10:11], v[20:21], v[18:19]
	v_mul_f64_e32 v[18:19], s[24:25], v[94:95]
	v_mul_f64_e32 v[20:21], s[38:39], v[244:245]
	;; [unrolled: 1-line block ×3, first 2 shown]
	s_wait_loadcnt 0x0
	v_add_f64_e64 v[22:23], v[0:1], -v[22:23]
	scratch_load_b64 v[0:1], off, off offset:564 th:TH_LOAD_LU ; 8-byte Folded Reload
	v_add_f64_e32 v[8:9], v[22:23], v[8:9]
	v_mul_f64_e32 v[22:23], s[2:3], v[98:99]
	s_wait_loadcnt 0x0
	v_add_f64_e32 v[24:25], v[24:25], v[0:1]
	scratch_load_b64 v[0:1], off, off offset:620 th:TH_LOAD_LU ; 8-byte Folded Reload
	v_add_f64_e32 v[10:11], v[24:25], v[10:11]
	v_mul_f64_e32 v[24:25], s[46:47], v[248:249]
	v_mul_f64_e32 v[248:249], s[36:37], v[248:249]
	s_wait_loadcnt 0x0
	v_add_f64_e64 v[30:31], v[0:1], -v[30:31]
	scratch_load_b64 v[0:1], off, off offset:628 th:TH_LOAD_LU ; 8-byte Folded Reload
	v_add_f64_e32 v[8:9], v[30:31], v[8:9]
	v_mul_f64_e32 v[30:31], s[26:27], v[114:115]
	s_wait_loadcnt 0x0
	v_add_f64_e64 v[36:37], v[0:1], -v[36:37]
	scratch_load_b64 v[0:1], off, off offset:572 th:TH_LOAD_LU ; 8-byte Folded Reload
	v_add_f64_e32 v[8:9], v[36:37], v[8:9]
	v_fma_f64 v[36:37], v[72:73], s[16:17], v[182:183]
	s_delay_alu instid0(VALU_DEP_1)
	v_add_f64_e32 v[36:37], v[36:37], v[236:237]
	v_mul_f64_e32 v[236:237], s[50:51], v[118:119]
	s_wait_loadcnt 0x0
	v_add_f64_e32 v[38:39], v[38:39], v[0:1]
	scratch_load_b64 v[0:1], off, off offset:604 th:TH_LOAD_LU ; 8-byte Folded Reload
	v_add_f64_e32 v[10:11], v[38:39], v[10:11]
	v_fma_f64 v[38:39], v[70:71], s[10:11], -v[236:237]
	s_wait_loadcnt 0x0
	v_add_f64_e32 v[48:49], v[48:49], v[0:1]
	scratch_load_b64 v[0:1], off, off offset:932 th:TH_LOAD_LU ; 8-byte Folded Reload
	v_add_f64_e32 v[10:11], v[48:49], v[10:11]
	s_wait_loadcnt 0x0
	v_add_f64_e64 v[50:51], v[0:1], -v[50:51]
	scratch_load_b64 v[0:1], off, off offset:612 th:TH_LOAD_LU ; 8-byte Folded Reload
	v_add_f64_e32 v[8:9], v[50:51], v[8:9]
	s_wait_loadcnt 0x0
	v_add_f64_e32 v[18:19], v[18:19], v[0:1]
	scratch_load_b64 v[0:1], off, off offset:924 th:TH_LOAD_LU ; 8-byte Folded Reload
	v_add_f64_e32 v[10:11], v[18:19], v[10:11]
	v_mul_f64_e32 v[18:19], s[16:17], v[102:103]
	s_wait_loadcnt 0x0
	v_add_f64_e64 v[20:21], v[0:1], -v[20:21]
	scratch_load_b64 v[0:1], off, off offset:900 th:TH_LOAD_LU ; 8-byte Folded Reload
	v_add_f64_e32 v[8:9], v[20:21], v[8:9]
	s_wait_loadcnt 0x0
	v_add_f64_e32 v[22:23], v[22:23], v[0:1]
	scratch_load_b64 v[0:1], off, off offset:916 th:TH_LOAD_LU ; 8-byte Folded Reload
	v_add_f64_e32 v[10:11], v[22:23], v[10:11]
	s_wait_loadcnt 0x0
	v_add_f64_e64 v[24:25], v[0:1], -v[24:25]
	scratch_load_b64 v[0:1], off, off offset:908 th:TH_LOAD_LU ; 8-byte Folded Reload
	s_clause 0x1
	scratch_store_b64 off, v[96:97], off offset:240
	scratch_store_b64 off, v[74:75], off offset:264
	v_mul_f64_e32 v[74:75], s[48:49], v[122:123]
	s_clause 0x1
	scratch_store_b64 off, v[56:57], off offset:272
	scratch_store_b64 off, v[58:59], off offset:256
	v_dual_mov_b32 v56, v222 :: v_dual_mov_b32 v57, v223
	v_dual_mov_b32 v58, v224 :: v_dual_mov_b32 v59, v225
	v_mul_f64_e32 v[224:225], s[42:43], v[186:187]
	scratch_store_b64 off, v[78:79], off offset:280 ; 8-byte Folded Spill
	v_mul_f64_e32 v[78:79], s[46:47], v[242:243]
	v_mul_f64_e32 v[222:223], s[26:27], v[186:187]
	scratch_load_b64 v[50:51], off, off offset:876 th:TH_LOAD_LU ; 8-byte Folded Reload
	v_dual_mov_b32 v97, v33 :: v_dual_mov_b32 v96, v32
	v_mul_f64_e32 v[32:33], s[52:53], v[184:185]
	v_mul_f64_e32 v[122:123], s[46:47], v[122:123]
	v_mul_f64_e32 v[186:187], s[52:53], v[186:187]
	v_mul_f64_e32 v[184:185], s[22:23], v[184:185]
	v_add_f64_e32 v[20:21], v[24:25], v[8:9]
	v_fma_f64 v[8:9], v[68:69], s[14:15], -v[30:31]
	s_delay_alu instid0(VALU_DEP_1)
	v_add_f64_e32 v[8:9], v[8:9], v[26:27]
	v_mul_f64_e32 v[26:27], s[26:27], v[126:127]
	s_wait_loadcnt 0x1
	v_add_f64_e32 v[18:19], v[18:19], v[0:1]
	v_dual_mov_b32 v0, v126 :: v_dual_mov_b32 v1, v127
	v_mul_f64_e32 v[126:127], s[52:53], v[242:243]
	v_mul_f64_e32 v[242:243], s[22:23], v[242:243]
	s_delay_alu instid0(VALU_DEP_4) | instskip(SKIP_1) | instid1(VALU_DEP_1)
	v_add_f64_e32 v[18:19], v[18:19], v[10:11]
	v_fma_f64 v[10:11], v[72:73], s[14:15], v[26:27]
	v_add_f64_e32 v[10:11], v[10:11], v[40:41]
	v_mul_f64_e32 v[40:41], s[30:31], v[118:119]
	v_mul_f64_e32 v[118:119], s[40:41], v[118:119]
	s_delay_alu instid0(VALU_DEP_2) | instskip(NEXT) | instid1(VALU_DEP_1)
	v_fma_f64 v[22:23], v[70:71], s[18:19], -v[40:41]
	v_add_f64_e32 v[8:9], v[22:23], v[8:9]
	v_fma_f64 v[22:23], v[76:77], s[18:19], v[5:6]
	s_delay_alu instid0(VALU_DEP_1) | instskip(SKIP_1) | instid1(VALU_DEP_1)
	v_add_f64_e32 v[10:11], v[22:23], v[10:11]
	v_fma_f64 v[22:23], v[120:121], s[24:25], -v[74:75]
	v_add_f64_e32 v[8:9], v[22:23], v[8:9]
	v_fma_f64 v[22:23], v[80:81], s[24:25], v[16:17]
	s_delay_alu instid0(VALU_DEP_1)
	v_add_f64_e32 v[10:11], v[22:23], v[10:11]
	v_fma_f64 v[22:23], v[201:202], s[20:21], -v[224:225]
	v_mov_b32_e32 v201, v177
	v_mul_f64_e32 v[176:177], s[54:55], v[240:241]
	v_mul_f64_e32 v[202:203], s[30:31], v[0:1]
	;; [unrolled: 1-line block ×5, first 2 shown]
	v_add_f64_e32 v[8:9], v[22:23], v[8:9]
	v_fma_f64 v[22:23], v[88:89], s[20:21], v[141:142]
	s_delay_alu instid0(VALU_DEP_1) | instskip(SKIP_1) | instid1(VALU_DEP_1)
	v_add_f64_e32 v[10:11], v[22:23], v[10:11]
	v_fma_f64 v[22:23], v[208:209], s[16:17], -v[78:79]
	v_add_f64_e32 v[8:9], v[22:23], v[8:9]
	v_fma_f64 v[22:23], v[94:95], s[16:17], v[212:213]
	s_delay_alu instid0(VALU_DEP_1) | instskip(SKIP_1) | instid1(VALU_DEP_1)
	v_add_f64_e32 v[10:11], v[22:23], v[10:11]
	v_fma_f64 v[22:23], v[210:211], s[12:13], -v[138:139]
	;; [unrolled: 5-line block ×3, first 2 shown]
	v_add_f64_e32 v[24:25], v[22:23], v[8:9]
	v_fma_f64 v[8:9], v[102:103], s[10:11], v[180:181]
	s_delay_alu instid0(VALU_DEP_1) | instskip(SKIP_2) | instid1(VALU_DEP_2)
	v_add_f64_e32 v[22:23], v[8:9], v[10:11]
	v_mul_f64_e32 v[8:9], s[34:35], v[114:115]
	v_mul_f64_e32 v[114:115], s[30:31], v[114:115]
	v_fma_f64 v[10:11], v[68:69], s[16:17], -v[8:9]
	v_fma_f64 v[8:9], v[68:69], s[16:17], v[8:9]
	s_delay_alu instid0(VALU_DEP_2) | instskip(SKIP_2) | instid1(VALU_DEP_3)
	v_add_f64_e32 v[10:11], v[10:11], v[238:239]
	v_mul_f64_e32 v[238:239], s[50:51], v[116:117]
	v_mul_f64_e32 v[116:117], s[40:41], v[116:117]
	v_add_f64_e32 v[10:11], v[38:39], v[10:11]
	s_delay_alu instid0(VALU_DEP_3) | instskip(NEXT) | instid1(VALU_DEP_1)
	v_fma_f64 v[38:39], v[76:77], s[10:11], v[238:239]
	v_add_f64_e32 v[36:37], v[38:39], v[36:37]
	v_fma_f64 v[38:39], v[120:121], s[20:21], -v[226:227]
	s_delay_alu instid0(VALU_DEP_1) | instskip(SKIP_1) | instid1(VALU_DEP_1)
	v_add_f64_e32 v[10:11], v[38:39], v[10:11]
	v_fma_f64 v[38:39], v[80:81], s[20:21], v[214:215]
	v_add_f64_e32 v[36:37], v[38:39], v[36:37]
	v_fma_f64 v[38:39], v[124:125], s[14:15], -v[222:223]
	s_delay_alu instid0(VALU_DEP_1) | instskip(SKIP_1) | instid1(VALU_DEP_1)
	v_add_f64_e32 v[10:11], v[38:39], v[10:11]
	;; [unrolled: 5-line block ×4, first 2 shown]
	v_fma_f64 v[38:39], v[98:99], s[24:25], v[228:229]
	v_add_f64_e32 v[36:37], v[38:39], v[36:37]
	v_fma_f64 v[38:39], v[132:133], s[12:13], -v[220:221]
	s_delay_alu instid0(VALU_DEP_1) | instskip(SKIP_2) | instid1(VALU_DEP_2)
	v_add_f64_e32 v[38:39], v[38:39], v[10:11]
	v_mul_f64_e32 v[10:11], s[28:29], v[246:247]
	v_mul_f64_e32 v[246:247], s[36:37], v[246:247]
	v_fma_f64 v[48:49], v[102:103], s[12:13], v[10:11]
	v_fma_f64 v[10:11], v[102:103], s[12:13], -v[10:11]
	s_delay_alu instid0(VALU_DEP_2) | instskip(SKIP_2) | instid1(VALU_DEP_1)
	v_add_f64_e32 v[36:37], v[48:49], v[36:37]
	v_fma_f64 v[48:49], v[68:69], s[18:19], -v[114:115]
	s_wait_loadcnt 0x0
	v_add_f64_e32 v[48:49], v[48:49], v[50:51]
	v_fma_f64 v[50:51], v[72:73], s[18:19], v[202:203]
	s_delay_alu instid0(VALU_DEP_1) | instskip(SKIP_1) | instid1(VALU_DEP_1)
	v_add_f64_e32 v[50:51], v[50:51], v[46:47]
	v_fma_f64 v[46:47], v[70:71], s[24:25], -v[118:119]
	v_add_f64_e32 v[46:47], v[46:47], v[48:49]
	v_fma_f64 v[48:49], v[76:77], s[24:25], v[116:117]
	s_delay_alu instid0(VALU_DEP_1) | instskip(SKIP_1) | instid1(VALU_DEP_1)
	v_add_f64_e32 v[48:49], v[48:49], v[50:51]
	v_fma_f64 v[50:51], v[120:121], s[16:17], -v[122:123]
	;; [unrolled: 5-line block ×6, first 2 shown]
	v_add_f64_e32 v[50:51], v[50:51], v[46:47]
	v_fma_f64 v[46:47], v[102:103], s[20:21], v[246:247]
	s_delay_alu instid0(VALU_DEP_1)
	v_add_f64_e32 v[48:49], v[46:47], v[48:49]
	scratch_load_b64 v[46:47], off, off offset:868 th:TH_LOAD_LU ; 8-byte Folded Reload
	s_wait_loadcnt 0x0
	v_add_f64_e32 v[12:13], v[12:13], v[46:47]
	scratch_load_b64 v[46:47], off, off offset:860 th:TH_LOAD_LU ; 8-byte Folded Reload
	v_add_f64_e32 v[12:13], v[34:35], v[12:13]
	v_fma_f64 v[34:35], v[76:77], s[2:3], v[206:207]
	s_wait_loadcnt 0x0
	v_add_f64_e32 v[28:29], v[28:29], v[46:47]
	s_delay_alu instid0(VALU_DEP_1) | instskip(SKIP_1) | instid1(VALU_DEP_1)
	v_add_f64_e32 v[28:29], v[34:35], v[28:29]
	v_fma_f64 v[34:35], v[120:121], s[12:13], -v[191:192]
	v_add_f64_e32 v[12:13], v[34:35], v[12:13]
	v_fma_f64 v[34:35], v[80:81], s[12:13], v[252:253]
	s_delay_alu instid0(VALU_DEP_2) | instskip(NEXT) | instid1(VALU_DEP_2)
	v_add_f64_e32 v[12:13], v[14:15], v[12:13]
	v_add_f64_e32 v[28:29], v[34:35], v[28:29]
	v_fma_f64 v[14:15], v[88:89], s[24:25], v[254:255]
	v_fma_f64 v[34:35], v[102:103], s[18:19], v[54:55]
	s_delay_alu instid0(VALU_DEP_2) | instskip(SKIP_1) | instid1(VALU_DEP_1)
	v_add_f64_e32 v[14:15], v[14:15], v[28:29]
	v_fma_f64 v[28:29], v[208:209], s[14:15], -v[106:107]
	v_add_f64_e32 v[12:13], v[28:29], v[12:13]
	v_fma_f64 v[28:29], v[94:95], s[14:15], v[66:67]
	s_delay_alu instid0(VALU_DEP_1) | instskip(SKIP_1) | instid1(VALU_DEP_1)
	v_add_f64_e32 v[14:15], v[28:29], v[14:15]
	v_fma_f64 v[28:29], v[210:211], s[10:11], -v[112:113]
	v_add_f64_e32 v[12:13], v[28:29], v[12:13]
	v_fma_f64 v[28:29], v[98:99], s[10:11], v[86:87]
	s_delay_alu instid0(VALU_DEP_1) | instskip(SKIP_1) | instid1(VALU_DEP_2)
	v_add_f64_e32 v[14:15], v[28:29], v[14:15]
	v_fma_f64 v[28:29], v[132:133], s[18:19], -v[110:111]
	v_add_f64_e32 v[110:111], v[34:35], v[14:15]
	scratch_load_b64 v[14:15], off, off offset:820 th:TH_LOAD_LU ; 8-byte Folded Reload
	v_add_f64_e32 v[112:113], v[28:29], v[12:13]
	scratch_load_b64 v[28:29], off, off offset:812 th:TH_LOAD_LU ; 8-byte Folded Reload
	v_fma_f64 v[12:13], v[68:69], s[18:19], v[114:115]
	v_fma_f64 v[34:35], v[102:103], s[20:21], -v[246:247]
	s_wait_loadcnt 0x1
	s_delay_alu instid0(VALU_DEP_2) | instskip(SKIP_2) | instid1(VALU_DEP_1)
	v_add_f64_e32 v[12:13], v[12:13], v[14:15]
	v_fma_f64 v[14:15], v[72:73], s[18:19], -v[202:203]
	s_wait_loadcnt 0x0
	v_add_f64_e32 v[14:15], v[14:15], v[28:29]
	v_fma_f64 v[28:29], v[70:71], s[24:25], v[118:119]
	s_delay_alu instid0(VALU_DEP_1) | instskip(SKIP_1) | instid1(VALU_DEP_1)
	v_add_f64_e32 v[12:13], v[28:29], v[12:13]
	v_fma_f64 v[28:29], v[76:77], s[24:25], -v[116:117]
	v_add_f64_e32 v[14:15], v[28:29], v[14:15]
	v_fma_f64 v[28:29], v[120:121], s[16:17], v[122:123]
	s_delay_alu instid0(VALU_DEP_1) | instskip(SKIP_4) | instid1(VALU_DEP_1)
	v_add_f64_e32 v[12:13], v[28:29], v[12:13]
	v_fma_f64 v[28:29], v[80:81], s[16:17], -v[0:1]
	scratch_load_b64 v[0:1], off, off offset:892 th:TH_LOAD_LU ; 8-byte Folded Reload
	v_add_f64_e32 v[14:15], v[28:29], v[14:15]
	v_fma_f64 v[28:29], v[124:125], s[2:3], v[186:187]
	v_add_f64_e32 v[12:13], v[28:29], v[12:13]
	v_fma_f64 v[28:29], v[88:89], s[2:3], -v[2:3]
	s_delay_alu instid0(VALU_DEP_1) | instskip(SKIP_1) | instid1(VALU_DEP_1)
	v_add_f64_e32 v[14:15], v[28:29], v[14:15]
	v_fma_f64 v[28:29], v[208:209], s[10:11], v[242:243]
	v_add_f64_e32 v[12:13], v[28:29], v[12:13]
	v_fma_f64 v[28:29], v[94:95], s[10:11], -v[184:185]
	s_delay_alu instid0(VALU_DEP_1) | instskip(SKIP_1) | instid1(VALU_DEP_1)
	v_add_f64_e32 v[14:15], v[28:29], v[14:15]
	v_fma_f64 v[28:29], v[210:211], s[14:15], v[244:245]
	v_add_f64_e32 v[12:13], v[28:29], v[12:13]
	v_fma_f64 v[28:29], v[98:99], s[14:15], -v[240:241]
	s_delay_alu instid0(VALU_DEP_1) | instskip(SKIP_1) | instid1(VALU_DEP_2)
	v_add_f64_e32 v[14:15], v[28:29], v[14:15]
	v_fma_f64 v[28:29], v[132:133], s[20:21], v[248:249]
	v_add_f64_e32 v[114:115], v[34:35], v[14:15]
	s_delay_alu instid0(VALU_DEP_2)
	v_add_f64_e32 v[116:117], v[28:29], v[12:13]
	v_fma_f64 v[12:13], v[72:73], s[16:17], -v[182:183]
	v_fma_f64 v[14:15], v[70:71], s[10:11], v[236:237]
	v_fma_f64 v[28:29], v[102:103], s[10:11], -v[180:181]
	s_wait_loadcnt 0x0
	v_add_f64_e32 v[8:9], v[8:9], v[0:1]
	scratch_load_b64 v[0:1], off, off offset:884 th:TH_LOAD_LU ; 8-byte Folded Reload
	v_add_f64_e32 v[8:9], v[14:15], v[8:9]
	v_fma_f64 v[14:15], v[76:77], s[10:11], -v[238:239]
	s_wait_loadcnt 0x0
	v_add_f64_e32 v[12:13], v[12:13], v[0:1]
	s_delay_alu instid0(VALU_DEP_1) | instskip(SKIP_3) | instid1(VALU_DEP_3)
	v_add_f64_e32 v[12:13], v[14:15], v[12:13]
	v_fma_f64 v[14:15], v[120:121], s[20:21], v[226:227]
	v_mov_b32_e32 v226, v52
	v_mov_b32_e32 v52, v4
	v_add_f64_e32 v[8:9], v[14:15], v[8:9]
	v_fma_f64 v[14:15], v[80:81], s[20:21], -v[214:215]
	s_delay_alu instid0(VALU_DEP_1) | instskip(SKIP_1) | instid1(VALU_DEP_1)
	v_add_f64_e32 v[12:13], v[14:15], v[12:13]
	v_fma_f64 v[14:15], v[124:125], s[14:15], v[222:223]
	v_add_f64_e32 v[8:9], v[14:15], v[8:9]
	v_fma_f64 v[14:15], v[88:89], s[14:15], -v[194:195]
	v_dual_mov_b32 v196, v85 :: v_dual_mov_b32 v195, v84
	v_dual_mov_b32 v194, v83 :: v_dual_mov_b32 v193, v82
	s_delay_alu instid0(VALU_DEP_3) | instskip(SKIP_1) | instid1(VALU_DEP_1)
	v_add_f64_e32 v[12:13], v[14:15], v[12:13]
	v_fma_f64 v[14:15], v[208:209], s[2:3], v[126:127]
	v_add_f64_e32 v[8:9], v[14:15], v[8:9]
	v_fma_f64 v[14:15], v[94:95], s[2:3], -v[32:33]
	v_fma_f64 v[32:33], v[120:121], s[2:3], v[250:251]
	s_delay_alu instid0(VALU_DEP_2) | instskip(SKIP_1) | instid1(VALU_DEP_1)
	v_add_f64_e32 v[12:13], v[14:15], v[12:13]
	v_fma_f64 v[14:15], v[210:211], s[24:25], v[104:105]
	v_add_f64_e32 v[8:9], v[14:15], v[8:9]
	v_fma_f64 v[14:15], v[98:99], s[24:25], -v[228:229]
	s_delay_alu instid0(VALU_DEP_1) | instskip(SKIP_1) | instid1(VALU_DEP_2)
	v_add_f64_e32 v[12:13], v[14:15], v[12:13]
	v_fma_f64 v[14:15], v[132:133], s[12:13], v[220:221]
	v_add_f64_e32 v[1:2], v[10:11], v[12:13]
	s_delay_alu instid0(VALU_DEP_2)
	v_add_f64_e32 v[3:4], v[14:15], v[8:9]
	s_clause 0x1
	scratch_load_b64 v[8:9], off, off offset:740 th:TH_LOAD_LU
	scratch_load_b64 v[10:11], off, off offset:796 th:TH_LOAD_LU
	s_wait_loadcnt 0x0
	v_add_f64_e32 v[8:9], v[10:11], v[8:9]
	s_clause 0x2
	scratch_load_b64 v[10:11], off, off offset:788 th:TH_LOAD_LU
	scratch_load_b64 v[12:13], off, off offset:804 th:TH_LOAD_LU
	;; [unrolled: 1-line block ×3, first 2 shown]
	s_wait_loadcnt 0x1
	v_add_f64_e32 v[10:11], v[12:13], v[10:11]
	scratch_load_b64 v[12:13], off, off offset:748 th:TH_LOAD_LU ; 8-byte Folded Reload
	s_wait_loadcnt 0x0
	v_add_f64_e32 v[8:9], v[8:9], v[12:13]
	scratch_load_b64 v[12:13], off, off offset:1164 th:TH_LOAD_LU ; 8-byte Folded Reload
	;; [unrolled: 3-line block ×11, first 2 shown]
	v_add_f64_e32 v[10:11], v[10:11], v[100:101]
	s_delay_alu instid0(VALU_DEP_1)
	v_add_f64_e32 v[10:11], v[10:11], v[64:65]
	s_wait_loadcnt 0x0
	v_add_f64_e32 v[8:9], v[8:9], v[12:13]
	scratch_load_b64 v[12:13], off, off offset:280 th:TH_LOAD_LU ; 8-byte Folded Reload
	v_add_f64_e32 v[8:9], v[8:9], v[108:109]
	s_wait_loadcnt 0x0
	s_delay_alu instid0(VALU_DEP_1)
	v_add_f64_e32 v[8:9], v[8:9], v[12:13]
	scratch_load_b64 v[12:13], off, off offset:1132 th:TH_LOAD_LU ; 8-byte Folded Reload
	s_wait_loadcnt 0x0
	v_add_f64_e32 v[10:11], v[10:11], v[12:13]
	scratch_load_b64 v[12:13], off, off offset:756 th:TH_LOAD_LU ; 8-byte Folded Reload
	s_wait_loadcnt 0x0
	;; [unrolled: 3-line block ×5, first 2 shown]
	v_add_f64_e32 v[10:11], v[10:11], v[12:13]
	scratch_load_b64 v[12:13], off, off offset:1124 th:TH_LOAD_LU ; 8-byte Folded Reload
	v_add_f64_e32 v[10:11], v[10:11], v[96:97]
	s_wait_loadcnt 0x0
	v_add_f64_e32 v[8:9], v[8:9], v[12:13]
	scratch_load_b64 v[12:13], off, off offset:1084 th:TH_LOAD_LU ; 8-byte Folded Reload
	s_wait_loadcnt 0x0
	v_add_f64_e32 v[8:9], v[8:9], v[12:13]
	scratch_load_b64 v[12:13], off, off offset:240 th:TH_LOAD_LU ; 8-byte Folded Reload
	;; [unrolled: 3-line block ×6, first 2 shown]
	s_wait_loadcnt 0x0
	v_add_f64_e32 v[8:9], v[12:13], v[8:9]
	v_fma_f64 v[12:13], v[68:69], s[14:15], v[30:31]
	v_fma_f64 v[30:31], v[76:77], s[20:21], -v[189:190]
	s_delay_alu instid0(VALU_DEP_2)
	v_add_f64_e32 v[12:13], v[12:13], v[14:15]
	v_fma_f64 v[14:15], v[72:73], s[14:15], -v[26:27]
	scratch_load_b64 v[26:27], off, off offset:836 th:TH_LOAD_LU ; 8-byte Folded Reload
	s_wait_loadcnt 0x0
	v_add_f64_e32 v[14:15], v[14:15], v[26:27]
	v_fma_f64 v[26:27], v[70:71], s[18:19], v[40:41]
	s_delay_alu instid0(VALU_DEP_1) | instskip(SKIP_4) | instid1(VALU_DEP_1)
	v_add_f64_e32 v[12:13], v[26:27], v[12:13]
	v_fma_f64 v[26:27], v[76:77], s[18:19], -v[5:6]
	scratch_load_b64 v[5:6], off, off offset:1004 th:TH_LOAD_LU ; 8-byte Folded Reload
	v_add_f64_e32 v[14:15], v[26:27], v[14:15]
	v_fma_f64 v[26:27], v[120:121], s[24:25], v[74:75]
	v_add_f64_e32 v[12:13], v[26:27], v[12:13]
	v_fma_f64 v[26:27], v[80:81], s[24:25], -v[16:17]
	s_delay_alu instid0(VALU_DEP_1) | instskip(SKIP_3) | instid1(VALU_DEP_3)
	v_add_f64_e32 v[14:15], v[26:27], v[14:15]
	v_fma_f64 v[26:27], v[124:125], s[20:21], v[224:225]
	v_dual_mov_b32 v225, v59 :: v_dual_mov_b32 v224, v58
	v_dual_mov_b32 v222, v56 :: v_dual_mov_b32 v223, v57
	v_add_f64_e32 v[12:13], v[26:27], v[12:13]
	v_fma_f64 v[26:27], v[88:89], s[20:21], -v[141:142]
	s_delay_alu instid0(VALU_DEP_1) | instskip(SKIP_1) | instid1(VALU_DEP_1)
	v_add_f64_e32 v[14:15], v[26:27], v[14:15]
	v_fma_f64 v[26:27], v[208:209], s[16:17], v[78:79]
	v_add_f64_e32 v[12:13], v[26:27], v[12:13]
	v_fma_f64 v[26:27], v[94:95], s[16:17], -v[212:213]
	s_delay_alu instid0(VALU_DEP_1)
	v_add_f64_e32 v[14:15], v[26:27], v[14:15]
	v_fma_f64 v[26:27], v[210:211], s[12:13], v[138:139]
	v_dual_mov_b32 v139, v230 :: v_dual_mov_b32 v230, v93
	v_mov_b32_e32 v227, v90
	v_dual_mov_b32 v229, v92 :: v_dual_mov_b32 v228, v91
	v_mov_b32_e32 v138, v235
	v_add_f64_e32 v[12:13], v[26:27], v[12:13]
	v_fma_f64 v[26:27], v[98:99], s[12:13], -v[176:177]
	v_mov_b32_e32 v177, v201
	s_wait_loadcnt 0x0
	v_fma_f64 v[16:17], v[68:69], s[10:11], v[5:6]
	scratch_load_b64 v[5:6], off, off offset:1012 th:TH_LOAD_LU ; 8-byte Folded Reload
	v_add_f64_e32 v[26:27], v[26:27], v[14:15]
	v_fma_f64 v[14:15], v[132:133], s[10:11], v[178:179]
	v_mov_b32_e32 v179, v7
	s_delay_alu instid0(VALU_DEP_2) | instskip(NEXT) | instid1(VALU_DEP_4)
	v_add_f64_e32 v[14:15], v[14:15], v[12:13]
	v_add_f64_e32 v[12:13], v[28:29], v[26:27]
	s_wait_loadcnt 0x0
	v_fma_f64 v[26:27], v[72:73], s[10:11], -v[5:6]
	scratch_load_b64 v[5:6], off, off offset:1036 th:TH_LOAD_LU ; 8-byte Folded Reload
	s_wait_loadcnt 0x0
	v_fma_f64 v[28:29], v[70:71], s[20:21], v[5:6]
	scratch_load_b64 v[5:6], off, off offset:852 th:TH_LOAD_LU ; 8-byte Folded Reload
	s_wait_loadcnt 0x0
	v_add_f64_e32 v[16:17], v[16:17], v[5:6]
	scratch_load_b64 v[5:6], off, off offset:844 th:TH_LOAD_LU ; 8-byte Folded Reload
	v_add_f64_e32 v[16:17], v[28:29], v[16:17]
	s_delay_alu instid0(VALU_DEP_1)
	v_add_f64_e32 v[16:17], v[32:33], v[16:17]
	s_wait_loadcnt 0x0
	v_add_f64_e32 v[26:27], v[26:27], v[5:6]
	scratch_load_b64 v[5:6], off, off offset:1044 th:TH_LOAD_LU ; 8-byte Folded Reload
	v_add_f64_e32 v[26:27], v[30:31], v[26:27]
	s_wait_loadcnt 0x0
	v_fma_f64 v[28:29], v[80:81], s[2:3], -v[5:6]
	scratch_load_b64 v[5:6], off, off offset:1052 th:TH_LOAD_LU ; 8-byte Folded Reload
	v_add_f64_e32 v[26:27], v[28:29], v[26:27]
	s_wait_loadcnt 0x0
	v_fma_f64 v[30:31], v[124:125], s[18:19], v[5:6]
	scratch_load_b64 v[5:6], off, off offset:1060 th:TH_LOAD_LU ; 8-byte Folded Reload
	v_add_f64_e32 v[16:17], v[30:31], v[16:17]
	s_wait_loadcnt 0x0
	v_fma_f64 v[32:33], v[88:89], s[18:19], -v[5:6]
	s_clause 0x5
	scratch_load_b64 v[5:6], off, off offset:1076 th:TH_LOAD_LU
	scratch_load_b32 v235, off, off offset:668
	scratch_load_b32 v176, off, off offset:636
	;; [unrolled: 1-line block ×3, first 2 shown]
	scratch_load_b128 v[90:93], off, off offset:676
	scratch_load_b32 v0, off, off offset:336 th:TH_LOAD_LU
	v_add_f64_e32 v[26:27], v[32:33], v[26:27]
	s_wait_loadcnt 0x5
	v_fma_f64 v[28:29], v[208:209], s[12:13], v[5:6]
	scratch_load_b64 v[5:6], off, off offset:1068 th:TH_LOAD_LU ; 8-byte Folded Reload
	v_add_f64_e32 v[16:17], v[28:29], v[16:17]
	s_wait_loadcnt 0x0
	v_fma_f64 v[30:31], v[94:95], s[12:13], -v[5:6]
	scratch_load_b64 v[5:6], off, off offset:1092 th:TH_LOAD_LU ; 8-byte Folded Reload
	v_add_f64_e32 v[26:27], v[30:31], v[26:27]
	s_wait_loadcnt 0x0
	v_fma_f64 v[32:33], v[210:211], s[16:17], v[5:6]
	scratch_load_b64 v[5:6], off, off offset:1100 th:TH_LOAD_LU ; 8-byte Folded Reload
	v_add_f64_e32 v[16:17], v[32:33], v[16:17]
	s_wait_loadcnt 0x0
	v_fma_f64 v[28:29], v[98:99], s[16:17], -v[5:6]
	scratch_load_b64 v[5:6], off, off offset:1108 th:TH_LOAD_LU ; 8-byte Folded Reload
	v_add_f64_e32 v[26:27], v[28:29], v[26:27]
	s_wait_loadcnt 0x0
	v_fma_f64 v[30:31], v[132:133], s[14:15], v[5:6]
	scratch_load_b64 v[5:6], off, off offset:1172 th:TH_LOAD_LU ; 8-byte Folded Reload
	v_add_f64_e32 v[28:29], v[30:31], v[16:17]
	v_lshrrev_b32_e32 v16, 1, v226
	s_delay_alu instid0(VALU_DEP_1) | instskip(NEXT) | instid1(VALU_DEP_1)
	v_mul_u32_u24_e32 v16, 34, v16
	v_or_b32_e32 v16, v16, v0
	s_delay_alu instid0(VALU_DEP_1)
	v_lshl_add_u32 v16, v16, 4, v140
	ds_store_b128 v16, v[8:11]
	s_wait_loadcnt 0x0
	v_fma_f64 v[32:33], v[102:103], s[14:15], -v[5:6]
	scratch_load_b128 v[5:8], off, off offset:1020 th:TH_LOAD_LU ; 16-byte Folded Reload
	s_wait_loadcnt 0x0
	ds_store_b128 v16, v[5:8] offset:32
	ds_store_b128 v16, v[42:45] offset:64
	;; [unrolled: 1-line block ×7, first 2 shown]
	scratch_load_b128 v[5:8], off, off offset:964 th:TH_LOAD_LU ; 16-byte Folded Reload
	v_add_f64_e32 v[26:27], v[32:33], v[26:27]
	scratch_load_b128 v[212:215], off, off offset:652 ; 16-byte Folded Reload
	s_wait_loadcnt 0x1
	ds_store_b128 v16, v[5:8] offset:256
	scratch_load_b128 v[5:8], off, off offset:948 th:TH_LOAD_LU ; 16-byte Folded Reload
	s_wait_loadcnt 0x0
	ds_store_b128 v16, v[5:8] offset:288
	scratch_load_b128 v[5:8], off, off offset:980 th:TH_LOAD_LU ; 16-byte Folded Reload
	s_wait_loadcnt 0x0
	ds_store_b128 v16, v[5:8] offset:320
	ds_store_b128 v16, v[114:117] offset:352
	;; [unrolled: 1-line block ×7, first 2 shown]
.LBB0_25:
	s_or_b32 exec_lo, exec_lo, s33
	global_wb scope:SCOPE_SE
	s_wait_storecnt_dscnt 0x0
	s_barrier_signal -1
	s_barrier_wait -1
	global_inv scope:SCOPE_SE
	ds_load_b128 v[4:7], v53
	ds_load_b128 v[8:11], v53 offset:1088
	ds_load_b128 v[48:51], v53 offset:9248
	;; [unrolled: 1-line block ×13, first 2 shown]
	s_and_saveexec_b32 s0, vcc_lo
	s_cbranch_execz .LBB0_27
; %bb.26:
	ds_load_b128 v[60:63], v53 offset:7616
	ds_load_b128 v[128:131], v53 offset:15776
.LBB0_27:
	s_wait_alu 0xfffe
	s_or_b32 exec_lo, exec_lo, s0
	scratch_load_b128 v[56:59], off, off offset:532 th:TH_LOAD_LU ; 16-byte Folded Reload
	s_wait_dscnt 0x3
	v_mul_f64_e32 v[54:55], v[136:137], v[66:67]
	s_delay_alu instid0(VALU_DEP_1) | instskip(SKIP_1) | instid1(VALU_DEP_1)
	v_fma_f64 v[54:55], v[134:135], v[64:65], v[54:55]
	v_mul_f64_e32 v[64:65], v[136:137], v[64:65]
	v_fma_f64 v[64:65], v[134:135], v[66:67], -v[64:65]
	s_wait_loadcnt 0x0
	v_mul_f64_e32 v[66:67], v[58:59], v[50:51]
	s_delay_alu instid0(VALU_DEP_1) | instskip(SKIP_1) | instid1(VALU_DEP_1)
	v_fma_f64 v[66:67], v[56:57], v[48:49], v[66:67]
	v_mul_f64_e32 v[48:49], v[58:59], v[48:49]
	v_fma_f64 v[48:49], v[56:57], v[50:51], -v[48:49]
	scratch_load_b128 v[56:59], off, off offset:500 th:TH_LOAD_LU ; 16-byte Folded Reload
	v_mul_f64_e32 v[50:51], v[150:151], v[46:47]
	s_delay_alu instid0(VALU_DEP_1) | instskip(SKIP_1) | instid1(VALU_DEP_1)
	v_fma_f64 v[50:51], v[148:149], v[44:45], v[50:51]
	v_mul_f64_e32 v[44:45], v[150:151], v[44:45]
	v_fma_f64 v[44:45], v[148:149], v[46:47], -v[44:45]
	v_mul_f64_e32 v[46:47], v[146:147], v[38:39]
	s_delay_alu instid0(VALU_DEP_1) | instskip(SKIP_1) | instid1(VALU_DEP_1)
	v_fma_f64 v[46:47], v[144:145], v[36:37], v[46:47]
	v_mul_f64_e32 v[36:37], v[146:147], v[36:37]
	v_fma_f64 v[68:69], v[144:145], v[38:39], -v[36:37]
	v_add_f64_e64 v[38:39], v[18:19], -v[44:45]
	s_delay_alu instid0(VALU_DEP_1) | instskip(SKIP_2) | instid1(VALU_DEP_1)
	v_fma_f64 v[18:19], v[18:19], 2.0, -v[38:39]
	s_wait_loadcnt 0x0
	v_mul_f64_e32 v[36:37], v[58:59], v[34:35]
	v_fma_f64 v[70:71], v[56:57], v[32:33], v[36:37]
	v_mul_f64_e32 v[32:33], v[58:59], v[32:33]
	s_delay_alu instid0(VALU_DEP_2) | instskip(NEXT) | instid1(VALU_DEP_2)
	v_add_f64_e64 v[44:45], v[24:25], -v[70:71]
	v_fma_f64 v[72:73], v[56:57], v[34:35], -v[32:33]
	scratch_load_b128 v[34:37], off, off offset:516 th:TH_LOAD_LU ; 16-byte Folded Reload
	global_wb scope:SCOPE_SE
	s_wait_loadcnt_dscnt 0x0
	s_barrier_signal -1
	s_barrier_wait -1
	global_inv scope:SCOPE_SE
	v_fma_f64 v[24:25], v[24:25], 2.0, -v[44:45]
	v_mul_f64_e32 v[32:33], v[36:37], v[42:43]
	s_delay_alu instid0(VALU_DEP_1) | instskip(SKIP_4) | instid1(VALU_DEP_4)
	v_fma_f64 v[74:75], v[34:35], v[40:41], v[32:33]
	v_mul_f64_e32 v[32:33], v[36:37], v[40:41]
	v_add_f64_e64 v[36:37], v[16:17], -v[50:51]
	v_add_f64_e64 v[40:41], v[12:13], -v[46:47]
	;; [unrolled: 1-line block ×3, first 2 shown]
	v_fma_f64 v[76:77], v[34:35], v[42:43], -v[32:33]
	v_mul_f64_e32 v[32:33], v[92:93], v[30:31]
	v_add_f64_e64 v[34:35], v[10:11], -v[48:49]
	v_fma_f64 v[16:17], v[16:17], 2.0, -v[36:37]
	v_add_f64_e64 v[42:43], v[14:15], -v[68:69]
	v_add_f64_e64 v[48:49], v[20:21], -v[74:75]
	v_fma_f64 v[68:69], v[12:13], 2.0, -v[40:41]
	v_fma_f64 v[26:27], v[26:27], 2.0, -v[46:47]
	v_add_f64_e64 v[50:51], v[22:23], -v[76:77]
	v_fma_f64 v[78:79], v[90:91], v[28:29], v[32:33]
	v_mul_f64_e32 v[28:29], v[92:93], v[28:29]
	v_add_f64_e64 v[32:33], v[8:9], -v[66:67]
	v_fma_f64 v[10:11], v[10:11], 2.0, -v[34:35]
	v_fma_f64 v[70:71], v[14:15], 2.0, -v[42:43]
	v_fma_f64 v[20:21], v[20:21], 2.0, -v[48:49]
	v_add_nc_u32_e32 v15, 0x440, v53
	v_add_nc_u32_e32 v14, 0x880, v53
	v_fma_f64 v[22:23], v[22:23], 2.0, -v[50:51]
	v_fma_f64 v[80:81], v[90:91], v[30:31], -v[28:29]
	v_add_f64_e64 v[28:29], v[4:5], -v[54:55]
	v_add_f64_e64 v[30:31], v[6:7], -v[64:65]
	v_fma_f64 v[8:9], v[8:9], 2.0, -v[32:33]
	v_add_f64_e64 v[64:65], v[0:1], -v[78:79]
	v_add_f64_e64 v[66:67], v[2:3], -v[80:81]
	v_fma_f64 v[4:5], v[4:5], 2.0, -v[28:29]
	v_fma_f64 v[6:7], v[6:7], 2.0, -v[30:31]
	ds_store_b128 v188, v[28:31] offset:544
	ds_store_b128 v188, v[4:7]
	ds_store_b128 v179, v[8:11]
	ds_store_b128 v179, v[32:35] offset:544
	ds_store_b128 v177, v[16:19]
	ds_store_b128 v177, v[36:39] offset:544
	scratch_load_b32 v4, off, off offset:340 th:TH_LOAD_LU ; 4-byte Folded Reload
	v_fma_f64 v[0:1], v[0:1], 2.0, -v[64:65]
	v_fma_f64 v[2:3], v[2:3], 2.0, -v[66:67]
	s_wait_loadcnt 0x0
	ds_store_b128 v4, v[68:71]
	ds_store_b128 v4, v[40:43] offset:544
	ds_store_b128 v176, v[24:27]
	ds_store_b128 v176, v[44:47] offset:544
	;; [unrolled: 2-line block ×3, first 2 shown]
	scratch_load_b32 v4, off, off offset:492 th:TH_LOAD_LU ; 4-byte Folded Reload
	s_wait_loadcnt 0x0
	ds_store_b128 v4, v[0:3]
	ds_store_b128 v4, v[64:67] offset:544
	s_and_saveexec_b32 s0, vcc_lo
	s_cbranch_execz .LBB0_29
; %bb.28:
	scratch_load_b128 v[4:7], off, off offset:548 th:TH_LOAD_LU ; 16-byte Folded Reload
	v_lshl_add_u32 v8, v235, 4, v140
	s_wait_loadcnt 0x0
	v_mul_f64_e32 v[0:1], v[6:7], v[128:129]
	v_mul_f64_e32 v[2:3], v[6:7], v[130:131]
	s_delay_alu instid0(VALU_DEP_2) | instskip(NEXT) | instid1(VALU_DEP_2)
	v_fma_f64 v[0:1], v[4:5], v[130:131], -v[0:1]
	v_fma_f64 v[4:5], v[4:5], v[128:129], v[2:3]
	s_delay_alu instid0(VALU_DEP_2) | instskip(NEXT) | instid1(VALU_DEP_2)
	v_add_f64_e64 v[2:3], v[62:63], -v[0:1]
	v_add_f64_e64 v[0:1], v[60:61], -v[4:5]
	s_delay_alu instid0(VALU_DEP_2) | instskip(NEXT) | instid1(VALU_DEP_2)
	v_fma_f64 v[6:7], v[62:63], 2.0, -v[2:3]
	v_fma_f64 v[4:5], v[60:61], 2.0, -v[0:1]
	ds_store_b128 v8, v[4:7] offset:15232
	ds_store_b128 v8, v[0:3] offset:15776
.LBB0_29:
	s_wait_alu 0xfffe
	s_or_b32 exec_lo, exec_lo, s0
	global_wb scope:SCOPE_SE
	s_wait_dscnt 0x0
	s_barrier_signal -1
	s_barrier_wait -1
	global_inv scope:SCOPE_SE
	ds_load_b128 v[0:3], v53 offset:5440
	ds_load_b128 v[4:7], v53 offset:10880
	;; [unrolled: 1-line block ×11, first 2 shown]
	s_mov_b32 s0, 0xe8584caa
	s_mov_b32 s1, 0xbfebb67a
	;; [unrolled: 1-line block ×3, first 2 shown]
	s_wait_alu 0xfffe
	s_mov_b32 s2, s0
	s_mov_b32 s10, 0x134454ff
	;; [unrolled: 1-line block ×4, first 2 shown]
	s_wait_alu 0xfffe
	s_mov_b32 s12, s10
	s_wait_dscnt 0xa
	v_mul_f64_e32 v[12:13], v[158:159], v[2:3]
	v_mul_f64_e32 v[48:49], v[158:159], v[0:1]
	s_wait_dscnt 0x9
	v_mul_f64_e32 v[50:51], v[154:155], v[6:7]
	v_mul_f64_e32 v[54:55], v[154:155], v[4:5]
	;; [unrolled: 3-line block ×6, first 2 shown]
	s_wait_dscnt 0x4
	v_mul_f64_e32 v[72:73], v[214:215], v[30:31]
	s_wait_dscnt 0x3
	v_mul_f64_e32 v[74:75], v[218:219], v[34:35]
	v_mul_f64_e32 v[76:77], v[214:215], v[28:29]
	;; [unrolled: 1-line block ×3, first 2 shown]
	s_wait_dscnt 0x2
	v_mul_f64_e32 v[80:81], v[224:225], v[38:39]
	s_wait_dscnt 0x1
	v_mul_f64_e32 v[82:83], v[233:234], v[42:43]
	v_mul_f64_e32 v[84:85], v[224:225], v[36:37]
	;; [unrolled: 1-line block ×3, first 2 shown]
	v_fma_f64 v[12:13], v[156:157], v[0:1], v[12:13]
	v_fma_f64 v[48:49], v[156:157], v[2:3], -v[48:49]
	v_fma_f64 v[50:51], v[152:153], v[4:5], v[50:51]
	v_fma_f64 v[54:55], v[152:153], v[6:7], -v[54:55]
	;; [unrolled: 2-line block ×6, first 2 shown]
	v_fma_f64 v[28:29], v[212:213], v[28:29], v[72:73]
	v_fma_f64 v[32:33], v[216:217], v[32:33], v[74:75]
	v_fma_f64 v[30:31], v[212:213], v[30:31], -v[76:77]
	v_fma_f64 v[34:35], v[216:217], v[34:35], -v[78:79]
	v_fma_f64 v[36:37], v[222:223], v[36:37], v[80:81]
	v_fma_f64 v[40:41], v[231:232], v[40:41], v[82:83]
	v_fma_f64 v[38:39], v[222:223], v[38:39], -v[84:85]
	v_fma_f64 v[42:43], v[231:232], v[42:43], -v[86:87]
	ds_load_b128 v[0:3], v53
	ds_load_b128 v[4:7], v53 offset:1088
	ds_load_b128 v[8:11], v53 offset:2176
	;; [unrolled: 1-line block ×3, first 2 shown]
	global_wb scope:SCOPE_SE
	s_wait_dscnt 0x0
	s_barrier_signal -1
	s_barrier_wait -1
	global_inv scope:SCOPE_SE
	v_add_f64_e32 v[84:85], v[0:1], v[12:13]
	v_add_f64_e32 v[64:65], v[12:13], v[50:51]
	;; [unrolled: 1-line block ×3, first 2 shown]
	v_add_f64_e64 v[86:87], v[48:49], -v[54:55]
	v_add_f64_e32 v[68:69], v[56:57], v[60:61]
	v_add_f64_e32 v[70:71], v[58:59], v[62:63]
	;; [unrolled: 1-line block ×8, first 2 shown]
	v_add_f64_e64 v[12:13], v[12:13], -v[50:51]
	v_add_f64_e32 v[78:79], v[30:31], v[34:35]
	v_add_f64_e32 v[88:89], v[4:5], v[56:57]
	;; [unrolled: 1-line block ×7, first 2 shown]
	v_add_f64_e64 v[58:59], v[58:59], -v[62:63]
	v_add_f64_e64 v[56:57], v[56:57], -v[60:61]
	v_add_f64_e32 v[100:101], v[44:45], v[36:37]
	v_add_f64_e32 v[102:103], v[46:47], v[38:39]
	v_add_f64_e64 v[104:105], v[22:23], -v[26:27]
	v_add_f64_e64 v[106:107], v[20:21], -v[24:25]
	;; [unrolled: 1-line block ×6, first 2 shown]
	v_fma_f64 v[64:65], v[64:65], -0.5, v[0:1]
	v_fma_f64 v[66:67], v[66:67], -0.5, v[2:3]
	v_add_f64_e32 v[0:1], v[84:85], v[50:51]
	v_fma_f64 v[68:69], v[68:69], -0.5, v[4:5]
	v_fma_f64 v[70:71], v[70:71], -0.5, v[6:7]
	v_add_f64_e32 v[2:3], v[48:49], v[54:55]
	;; [unrolled: 3-line block ×3, first 2 shown]
	v_fma_f64 v[76:77], v[76:77], -0.5, v[16:17]
	v_add_f64_e32 v[10:11], v[94:95], v[26:27]
	v_fma_f64 v[78:79], v[78:79], -0.5, v[18:19]
	v_add_f64_e32 v[4:5], v[88:89], v[60:61]
	;; [unrolled: 2-line block ×4, first 2 shown]
	v_add_f64_e32 v[18:19], v[98:99], v[34:35]
	v_add_f64_e32 v[20:21], v[100:101], v[40:41]
	;; [unrolled: 1-line block ×3, first 2 shown]
	v_fma_f64 v[24:25], v[86:87], s[0:1], v[64:65]
	v_fma_f64 v[26:27], v[12:13], s[2:3], v[66:67]
	;; [unrolled: 1-line block ×20, first 2 shown]
	s_mov_b32 s0, 0x4755a5e
	s_mov_b32 s1, 0xbfe2cf23
	;; [unrolled: 1-line block ×3, first 2 shown]
	s_wait_alu 0xfffe
	s_mov_b32 s2, s0
	ds_store_b128 v53, v[0:3]
	ds_store_b128 v53, v[24:27] offset:1088
	ds_store_b128 v53, v[28:31] offset:2176
	;; [unrolled: 1-line block ×14, first 2 shown]
	global_wb scope:SCOPE_SE
	s_wait_dscnt 0x0
	s_barrier_signal -1
	s_barrier_wait -1
	global_inv scope:SCOPE_SE
	ds_load_b128 v[4:7], v53 offset:3264
	ds_load_b128 v[8:11], v53 offset:6528
	;; [unrolled: 1-line block ×13, first 2 shown]
	s_clause 0x3
	scratch_load_b128 v[106:109], off, off offset:348 th:TH_LOAD_LU
	scratch_load_b128 v[112:115], off, off offset:380 th:TH_LOAD_LU
	;; [unrolled: 1-line block ×4, first 2 shown]
	s_wait_dscnt 0xc
	v_mul_f64_e32 v[12:13], v[174:175], v[6:7]
	v_mul_f64_e32 v[58:59], v[174:175], v[4:5]
	s_wait_dscnt 0xb
	v_mul_f64_e32 v[60:61], v[170:171], v[10:11]
	s_wait_dscnt 0x9
	v_mul_f64_e32 v[68:69], v[195:196], v[22:23]
	v_mul_f64_e32 v[62:63], v[170:171], v[8:9]
	;; [unrolled: 1-line block ×5, first 2 shown]
	s_wait_dscnt 0x7
	v_mul_f64_e32 v[76:77], v[229:230], v[30:31]
	v_mul_f64_e32 v[78:79], v[229:230], v[28:29]
	v_fma_f64 v[104:105], v[172:173], v[4:5], v[12:13]
	scratch_load_b64 v[4:5], off, off offset:232 th:TH_LOAD_LU ; 8-byte Folded Reload
	v_fma_f64 v[58:59], v[172:173], v[6:7], -v[58:59]
	v_fma_f64 v[6:7], v[193:194], v[20:21], v[68:69]
	v_fma_f64 v[60:61], v[168:169], v[8:9], v[60:61]
	v_fma_f64 v[62:63], v[168:169], v[10:11], -v[62:63]
	v_fma_f64 v[64:65], v[197:198], v[16:17], v[64:65]
	v_fma_f64 v[66:67], v[197:198], v[18:19], -v[66:67]
	v_fma_f64 v[8:9], v[193:194], v[22:23], -v[70:71]
	v_fma_f64 v[28:29], v[227:228], v[28:29], v[76:77]
	v_fma_f64 v[30:31], v[227:228], v[30:31], -v[78:79]
	ds_load_b128 v[16:19], v53
	v_mad_co_u64_u32 v[68:69], null, s4, v226, 0
	v_add_f64_e32 v[76:77], v[62:63], v[66:67]
	v_add_f64_e64 v[78:79], v[62:63], -v[66:67]
	s_wait_loadcnt 0x4
	v_mul_f64_e32 v[72:73], v[108:109], v[26:27]
	v_mul_f64_e32 v[74:75], v[108:109], v[24:25]
	scratch_load_b128 v[108:111], off, off offset:364 th:TH_LOAD_LU ; 16-byte Folded Reload
	s_wait_loadcnt_dscnt 0x407
	v_mul_f64_e32 v[80:81], v[114:115], v[34:35]
	v_mul_f64_e32 v[82:83], v[114:115], v[32:33]
	scratch_load_b128 v[114:117], off, off offset:396 th:TH_LOAD_LU ; 16-byte Folded Reload
	s_wait_loadcnt_dscnt 0x404
	;; [unrolled: 4-line block ×3, first 2 shown]
	v_mul_f64_e32 v[96:97], v[126:127], v[50:51]
	v_mul_f64_e32 v[98:99], v[126:127], v[48:49]
	v_fma_f64 v[24:25], v[106:107], v[24:25], v[72:73]
	v_fma_f64 v[26:27], v[106:107], v[26:27], -v[74:75]
	v_add_f64_e32 v[72:73], v[104:105], v[6:7]
	v_fma_f64 v[32:33], v[112:113], v[32:33], v[80:81]
	v_fma_f64 v[34:35], v[112:113], v[34:35], -v[82:83]
	v_add_f64_e32 v[80:81], v[58:59], v[8:9]
	v_add_f64_e64 v[82:83], v[104:105], -v[60:61]
	v_add_f64_e64 v[74:75], v[58:59], -v[8:9]
	s_wait_loadcnt 0x3
	v_mov_b32_e32 v20, v4
	v_add_f64_e64 v[106:107], v[60:61], -v[64:65]
	v_add_f64_e64 v[112:113], v[58:59], -v[62:63]
	s_delay_alu instid0(VALU_DEP_3)
	v_mad_co_u64_u32 v[4:5], null, s6, v20, 0
	v_add_f64_e64 v[128:129], v[28:29], -v[24:25]
	v_add_f64_e64 v[140:141], v[26:27], -v[30:31]
	;; [unrolled: 1-line block ×3, first 2 shown]
	s_wait_loadcnt 0x2
	v_mul_f64_e32 v[84:85], v[110:111], v[38:39]
	v_mul_f64_e32 v[86:87], v[110:111], v[36:37]
	s_wait_loadcnt 0x1
	v_mul_f64_e32 v[92:93], v[116:117], v[46:47]
	v_mul_f64_e32 v[94:95], v[116:117], v[44:45]
	v_add_f64_e64 v[116:117], v[66:67], -v[8:9]
	s_wait_loadcnt_dscnt 0x1
	v_mul_f64_e32 v[100:101], v[122:123], v[56:57]
	v_mul_f64_e32 v[102:103], v[122:123], v[54:55]
	v_add_f64_e64 v[122:123], v[30:31], -v[34:35]
	v_fma_f64 v[10:11], v[108:109], v[36:37], v[84:85]
	v_fma_f64 v[12:13], v[108:109], v[38:39], -v[86:87]
	v_fma_f64 v[36:37], v[118:119], v[40:41], v[88:89]
	v_fma_f64 v[38:39], v[118:119], v[42:43], -v[90:91]
	;; [unrolled: 2-line block ×5, first 2 shown]
	v_mad_co_u64_u32 v[54:55], null, s7, v20, v[5:6]
	v_add_f64_e32 v[55:56], v[60:61], v[64:65]
	v_add_f64_e32 v[84:85], v[28:29], v[32:33]
	;; [unrolled: 1-line block ×3, first 2 shown]
	ds_load_b128 v[20:23], v53 offset:1088
	s_wait_dscnt 0x1
	v_add_f64_e32 v[70:71], v[16:17], v[104:105]
	v_add_f64_e64 v[90:91], v[60:61], -v[104:105]
	v_mov_b32_e32 v5, v54
	v_add_f64_e64 v[102:103], v[104:105], -v[6:7]
	v_add_f64_e32 v[98:99], v[18:19], v[58:59]
	v_add_f64_e64 v[86:87], v[6:7], -v[64:65]
	v_add_f64_e64 v[94:95], v[64:65], -v[6:7]
	v_fma_f64 v[76:77], v[76:77], -0.5, v[18:19]
	v_add_f64_e64 v[114:115], v[8:9], -v[66:67]
	v_fma_f64 v[18:19], v[80:81], -0.5, v[18:19]
	v_add_f64_e64 v[124:125], v[24:25], -v[28:29]
	v_add_f64_e64 v[57:58], v[62:63], -v[58:59]
	v_lshlrev_b64_e32 v[4:5], 4, v[4:5]
	s_movk_i32 s6, 0xfe46
	s_mov_b32 s7, -1
	s_wait_dscnt 0x0
	v_add_f64_e32 v[132:133], v[22:23], v[26:27]
	v_add_f64_e32 v[118:119], v[20:21], v[24:25]
	;; [unrolled: 1-line block ×6, first 2 shown]
	v_add_f64_e64 v[120:121], v[26:27], -v[12:13]
	v_add_f64_e64 v[24:25], v[24:25], -v[10:11]
	v_add_f64_e32 v[100:101], v[40:41], v[44:45]
	v_add_f64_e32 v[108:109], v[42:43], v[46:47]
	;; [unrolled: 1-line block ×4, first 2 shown]
	v_add_f64_e64 v[142:143], v[38:39], -v[50:51]
	v_add_f64_e64 v[146:147], v[36:37], -v[48:49]
	v_fma_f64 v[55:56], v[55:56], -0.5, v[16:17]
	v_fma_f64 v[16:17], v[72:73], -0.5, v[16:17]
	;; [unrolled: 1-line block ×4, first 2 shown]
	v_add_f64_e64 v[26:27], v[30:31], -v[26:27]
	v_add_f64_e64 v[80:81], v[34:35], -v[12:13]
	;; [unrolled: 1-line block ×4, first 2 shown]
	v_add_f64_e32 v[59:60], v[70:71], v[60:61]
	v_add_f64_e32 v[61:62], v[98:99], v[62:63]
	v_add_f64_e64 v[126:127], v[10:11], -v[32:33]
	v_add_f64_e64 v[130:131], v[32:33], -v[10:11]
	;; [unrolled: 1-line block ×5, first 2 shown]
	v_add_f64_e32 v[70:71], v[82:83], v[86:87]
	v_add_f64_e32 v[82:83], v[90:91], v[94:95]
	v_fma_f64 v[98:99], v[102:103], s[12:13], v[76:77]
	v_add_f64_e32 v[86:87], v[112:113], v[114:115]
	v_fma_f64 v[112:113], v[106:107], s[10:11], v[18:19]
	v_fma_f64 v[18:19], v[106:107], s[12:13], v[18:19]
	;; [unrolled: 1-line block ×3, first 2 shown]
	v_add_f64_e64 v[72:73], v[12:13], -v[34:35]
	v_add_f64_e32 v[30:31], v[132:133], v[30:31]
	v_add_f64_e32 v[28:29], v[118:119], v[28:29]
	v_add_f64_e32 v[57:58], v[57:58], v[116:117]
	v_fma_f64 v[20:21], v[88:89], -0.5, v[20:21]
	v_fma_f64 v[22:23], v[96:97], -0.5, v[22:23]
	v_add_f64_e64 v[88:89], v[42:43], -v[46:47]
	v_add_f64_e32 v[42:43], v[138:139], v[42:43]
	v_add_f64_e64 v[96:97], v[48:49], -v[44:45]
	v_add_f64_e64 v[150:151], v[50:51], -v[46:47]
	v_fma_f64 v[100:101], v[100:101], -0.5, v[0:1]
	v_fma_f64 v[108:109], v[108:109], -0.5, v[2:3]
	;; [unrolled: 1-line block ×3, first 2 shown]
	v_add_f64_e64 v[104:105], v[40:41], -v[44:45]
	v_fma_f64 v[2:3], v[110:111], -0.5, v[2:3]
	v_add_f64_e64 v[110:111], v[44:45], -v[48:49]
	v_fma_f64 v[90:91], v[74:75], s[10:11], v[55:56]
	v_fma_f64 v[94:95], v[78:79], s[12:13], v[16:17]
	v_add_f64_e32 v[40:41], v[136:137], v[40:41]
	v_fma_f64 v[16:17], v[78:79], s[10:11], v[16:17]
	v_fma_f64 v[55:56], v[74:75], s[12:13], v[55:56]
	;; [unrolled: 1-line block ×6, first 2 shown]
	v_add_f64_e32 v[80:81], v[26:27], v[80:81]
	v_add_f64_e32 v[26:27], v[59:60], v[64:65]
	;; [unrolled: 1-line block ×5, first 2 shown]
	s_wait_alu 0xfffe
	v_fma_f64 v[59:60], v[102:103], s[2:3], v[112:113]
	v_add_f64_e32 v[72:73], v[140:141], v[72:73]
	v_add_f64_e32 v[30:31], v[30:31], v[34:35]
	v_add_f64_e32 v[28:29], v[28:29], v[32:33]
	v_fma_f64 v[116:117], v[122:123], s[12:13], v[20:21]
	v_fma_f64 v[132:133], v[134:135], s[10:11], v[22:23]
	;; [unrolled: 1-line block ×4, first 2 shown]
	v_add_f64_e32 v[34:35], v[42:43], v[46:47]
	v_fma_f64 v[46:47], v[106:107], s[2:3], v[98:99]
	v_fma_f64 v[136:137], v[142:143], s[10:11], v[100:101]
	;; [unrolled: 1-line block ×9, first 2 shown]
	v_add_f64_e32 v[110:111], v[36:37], v[110:111]
	v_add_f64_e32 v[36:37], v[61:62], v[66:67]
	v_fma_f64 v[38:39], v[78:79], s[0:1], v[90:91]
	v_fma_f64 v[42:43], v[74:75], s[0:1], v[94:95]
	v_add_f64_e32 v[32:33], v[40:41], v[44:45]
	v_fma_f64 v[44:45], v[74:75], s[2:3], v[16:17]
	v_fma_f64 v[61:62], v[102:103], s[0:1], v[18:19]
	;; [unrolled: 1-line block ×8, first 2 shown]
	v_add_f64_e32 v[96:97], v[144:145], v[96:97]
	v_add_f64_e32 v[128:129], v[148:149], v[150:151]
	v_fma_f64 v[74:75], v[120:121], s[0:1], v[116:117]
	v_fma_f64 v[90:91], v[24:25], s[2:3], v[132:133]
	;; [unrolled: 1-line block ×12, first 2 shown]
	v_mov_b32_e32 v0, v69
	s_mov_b32 s0, 0x372fe950
	s_mov_b32 s1, 0x3fd3c6ef
	v_add_f64_e32 v[2:3], v[36:37], v[8:9]
	s_wait_alu 0xfffe
	v_fma_f64 v[16:17], v[70:71], s[0:1], v[38:39]
	v_mad_co_u64_u32 v[108:109], null, s5, v226, v[0:1]
	v_add_f64_e32 v[0:1], v[26:27], v[6:7]
	v_fma_f64 v[18:19], v[86:87], s[0:1], v[46:47]
	v_fma_f64 v[24:25], v[82:83], s[0:1], v[42:43]
	;; [unrolled: 1-line block ×3, first 2 shown]
	v_add_f64_e32 v[6:7], v[28:29], v[10:11]
	v_add_f64_e32 v[8:9], v[30:31], v[12:13]
	v_mov_b32_e32 v69, v108
	v_fma_f64 v[28:29], v[82:83], s[0:1], v[44:45]
	v_fma_f64 v[30:31], v[57:58], s[0:1], v[61:62]
	v_fma_f64 v[20:21], v[70:71], s[0:1], v[40:41]
	v_fma_f64 v[22:23], v[86:87], s[0:1], v[55:56]
	v_add_f64_e32 v[10:11], v[32:33], v[48:49]
	v_add_f64_e32 v[12:13], v[34:35], v[50:51]
	v_fma_f64 v[32:33], v[124:125], s[0:1], v[63:64]
	v_fma_f64 v[34:35], v[72:73], s[0:1], v[78:79]
	;; [unrolled: 1-line block ×8, first 2 shown]
	v_lshlrev_b64_e32 v[66:67], 4, v[68:69]
	v_fma_f64 v[48:49], v[96:97], s[0:1], v[94:95]
	v_fma_f64 v[50:51], v[128:129], s[0:1], v[102:103]
	;; [unrolled: 1-line block ×8, first 2 shown]
	s_mul_u64 s[0:1], s[4:5], 0x1fe
	ds_store_b128 v53, v[0:3]
	ds_store_b128 v53, v[16:19] offset:3264
	ds_store_b128 v53, v[24:27] offset:6528
	;; [unrolled: 1-line block ×14, first 2 shown]
	s_wait_alu 0xfffe
	s_lshl_b64 s[2:3], s[0:1], 4
	v_add_co_u32 v4, s0, s8, v4
	s_wait_alu 0xf1ff
	v_add_co_ci_u32_e64 v5, s0, s9, v5, s0
	global_wb scope:SCOPE_SE
	s_wait_dscnt 0x0
	v_add_co_u32 v66, s0, v4, v66
	s_wait_alu 0xf1ff
	v_add_co_ci_u32_e64 v67, s0, v5, v67, s0
	s_barrier_signal -1
	s_barrier_wait -1
	global_inv scope:SCOPE_SE
	ds_load_b128 v[0:3], v53
	ds_load_b128 v[4:7], v53 offset:8160
	ds_load_b128 v[8:11], v53 offset:1088
	;; [unrolled: 1-line block ×13, first 2 shown]
	s_clause 0x2
	scratch_load_b128 v[132:135], off, off offset:24 th:TH_LOAD_LU
	scratch_load_b128 v[128:131], off, off offset:8 th:TH_LOAD_LU
	;; [unrolled: 1-line block ×3, first 2 shown]
	s_wait_alu 0xfffe
	v_add_co_u32 v68, s0, v66, s2
	s_mul_u64 s[4:5], s[4:5], s[6:7]
	v_add_co_ci_u32_e64 v69, s0, s3, v67, s0
	s_wait_alu 0xfffe
	s_lshl_b64 s[4:5], s[4:5], 4
	s_mov_b32 s6, 0x10101010
	s_wait_alu 0xfffe
	v_add_co_u32 v62, s0, v68, s4
	s_wait_alu 0xf1ff
	v_add_co_ci_u32_e64 v63, s0, s5, v69, s0
	s_mov_b32 s7, 0x3f501010
	s_delay_alu instid0(VALU_DEP_2) | instskip(SKIP_1) | instid1(VALU_DEP_2)
	v_add_co_u32 v64, s0, v62, s2
	s_wait_alu 0xf1ff
	v_add_co_ci_u32_e64 v65, s0, s3, v63, s0
	scratch_load_b128 v[142:145], off, off offset:88 th:TH_LOAD_LU ; 16-byte Folded Reload
	v_add_co_u32 v122, s0, v64, s4
	s_wait_alu 0xf1ff
	v_add_co_ci_u32_e64 v123, s0, s5, v65, s0
	s_delay_alu instid0(VALU_DEP_2) | instskip(SKIP_1) | instid1(VALU_DEP_2)
	v_add_co_u32 v124, s0, v122, s2
	s_wait_alu 0xf1ff
	v_add_co_ci_u32_e64 v125, s0, s3, v123, s0
	s_delay_alu instid0(VALU_DEP_2) | instskip(SKIP_1) | instid1(VALU_DEP_2)
	v_add_co_u32 v126, s0, v124, s4
	s_wait_alu 0xf1ff
	v_add_co_ci_u32_e64 v127, s0, s5, v125, s0
	s_wait_loadcnt_dscnt 0x30d
	v_mul_f64_e32 v[58:59], v[134:135], v[2:3]
	v_mul_f64_e32 v[60:61], v[134:135], v[0:1]
	scratch_load_b128 v[134:137], off, off offset:40 th:TH_LOAD_LU ; 16-byte Folded Reload
	s_wait_loadcnt_dscnt 0x30c
	v_mul_f64_e32 v[70:71], v[130:131], v[6:7]
	v_mul_f64_e32 v[72:73], v[130:131], v[4:5]
	s_wait_loadcnt_dscnt 0x10a
	v_mul_f64_e32 v[82:83], v[144:145], v[14:15]
	v_mul_f64_e32 v[84:85], v[144:145], v[12:13]
	scratch_load_b128 v[144:147], off, off offset:104 th:TH_LOAD_LU ; 16-byte Folded Reload
	v_fma_f64 v[0:1], v[132:133], v[0:1], v[58:59]
	v_fma_f64 v[58:59], v[132:133], v[2:3], -v[60:61]
	v_fma_f64 v[60:61], v[128:129], v[4:5], v[70:71]
	v_fma_f64 v[70:71], v[128:129], v[6:7], -v[72:73]
	s_wait_alu 0xfffe
	s_delay_alu instid0(VALU_DEP_4) | instskip(NEXT) | instid1(VALU_DEP_4)
	v_mul_f64_e32 v[2:3], s[6:7], v[0:1]
	v_mul_f64_e32 v[4:5], s[6:7], v[58:59]
	s_delay_alu instid0(VALU_DEP_4)
	v_mul_f64_e32 v[6:7], s[6:7], v[60:61]
	s_wait_loadcnt 0x1
	v_mul_f64_e32 v[74:75], v[136:137], v[10:11]
	v_mul_f64_e32 v[76:77], v[136:137], v[8:9]
	scratch_load_b128 v[136:139], off, off offset:56 th:TH_LOAD_LU ; 16-byte Folded Reload
	s_wait_loadcnt_dscnt 0x107
	v_mul_f64_e32 v[90:91], v[146:147], v[26:27]
	v_mul_f64_e32 v[92:93], v[146:147], v[24:25]
	scratch_load_b128 v[146:149], off, off offset:120 th:TH_LOAD_LU ; 16-byte Folded Reload
	v_fma_f64 v[72:73], v[134:135], v[8:9], v[74:75]
	v_fma_f64 v[74:75], v[134:135], v[10:11], -v[76:77]
	v_fma_f64 v[76:77], v[142:143], v[12:13], v[82:83]
	v_mul_f64_e32 v[8:9], s[6:7], v[70:71]
	s_delay_alu instid0(VALU_DEP_4) | instskip(NEXT) | instid1(VALU_DEP_4)
	v_mul_f64_e32 v[10:11], s[6:7], v[72:73]
	v_mul_f64_e32 v[12:13], s[6:7], v[74:75]
	s_wait_loadcnt 0x1
	v_mul_f64_e32 v[78:79], v[138:139], v[18:19]
	v_mul_f64_e32 v[80:81], v[138:139], v[16:17]
	scratch_load_b128 v[138:141], off, off offset:72 th:TH_LOAD_LU ; 16-byte Folded Reload
	s_wait_loadcnt_dscnt 0x106
	v_mul_f64_e32 v[94:95], v[148:149], v[30:31]
	v_mul_f64_e32 v[96:97], v[148:149], v[28:29]
	scratch_load_b128 v[148:151], off, off offset:136 th:TH_LOAD_LU ; 16-byte Folded Reload
	s_wait_dscnt 0x4
	v_mul_f64_e32 v[98:99], v[154:155], v[38:39]
	v_mul_f64_e32 v[100:101], v[154:155], v[36:37]
	scratch_load_b128 v[154:157], off, off offset:168 th:TH_LOAD_LU ; 16-byte Folded Reload
	v_fma_f64 v[16:17], v[136:137], v[16:17], v[78:79]
	v_fma_f64 v[18:19], v[136:137], v[18:19], -v[80:81]
	v_fma_f64 v[78:79], v[142:143], v[14:15], -v[84:85]
	v_fma_f64 v[84:85], v[144:145], v[24:25], v[90:91]
	v_fma_f64 v[90:91], v[146:147], v[30:31], -v[96:97]
	v_fma_f64 v[36:37], v[152:153], v[36:37], v[98:99]
	v_fma_f64 v[38:39], v[152:153], v[38:39], -v[100:101]
	v_mul_f64_e32 v[14:15], s[6:7], v[16:17]
	v_mul_f64_e32 v[16:17], s[6:7], v[18:19]
	;; [unrolled: 1-line block ×3, first 2 shown]
	s_wait_loadcnt 0x2
	v_mul_f64_e32 v[86:87], v[140:141], v[22:23]
	v_mul_f64_e32 v[88:89], v[140:141], v[20:21]
	s_wait_loadcnt 0x1
	v_mul_f64_e32 v[102:103], v[150:151], v[34:35]
	v_mul_f64_e32 v[104:105], v[150:151], v[32:33]
	s_wait_loadcnt_dscnt 0x3
	v_mul_f64_e32 v[106:107], v[156:157], v[42:43]
	v_mul_f64_e32 v[108:109], v[156:157], v[40:41]
	scratch_load_b128 v[156:159], off, off offset:184 th:TH_LOAD_LU ; 16-byte Folded Reload
	v_fma_f64 v[80:81], v[138:139], v[20:21], v[86:87]
	v_fma_f64 v[82:83], v[138:139], v[22:23], -v[88:89]
	v_fma_f64 v[86:87], v[144:145], v[26:27], -v[92:93]
	v_fma_f64 v[88:89], v[146:147], v[28:29], v[94:95]
	v_mul_f64_e32 v[20:21], s[6:7], v[78:79]
	v_mul_f64_e32 v[26:27], s[6:7], v[84:85]
	v_fma_f64 v[92:93], v[148:149], v[32:33], v[102:103]
	v_fma_f64 v[94:95], v[148:149], v[34:35], -v[104:105]
	v_mul_f64_e32 v[32:33], s[6:7], v[90:91]
	v_fma_f64 v[96:97], v[154:155], v[40:41], v[106:107]
	v_fma_f64 v[98:99], v[154:155], v[42:43], -v[108:109]
	v_add_co_u32 v108, s0, v126, s2
	v_mul_f64_e32 v[34:35], s[6:7], v[36:37]
	v_mul_f64_e32 v[36:37], s[6:7], v[38:39]
	s_wait_alu 0xf1ff
	v_add_co_ci_u32_e64 v109, s0, s3, v127, s0
	v_mul_f64_e32 v[22:23], s[6:7], v[80:81]
	v_mul_f64_e32 v[24:25], s[6:7], v[82:83]
	;; [unrolled: 1-line block ×7, first 2 shown]
	s_wait_loadcnt_dscnt 0x1
	v_mul_f64_e32 v[110:111], v[158:159], v[50:51]
	v_mul_f64_e32 v[112:113], v[158:159], v[48:49]
	scratch_load_b128 v[158:161], off, off offset:200 th:TH_LOAD_LU ; 16-byte Folded Reload
	v_fma_f64 v[48:49], v[156:157], v[48:49], v[110:111]
	v_fma_f64 v[50:51], v[156:157], v[50:51], -v[112:113]
	v_add_co_u32 v110, s0, v108, s4
	s_wait_alu 0xf1ff
	v_add_co_ci_u32_e64 v111, s0, s5, v109, s0
	s_wait_loadcnt 0x0
	v_mul_f64_e32 v[114:115], v[160:161], v[46:47]
	v_mul_f64_e32 v[116:117], v[160:161], v[44:45]
	scratch_load_b128 v[160:163], off, off offset:216 th:TH_LOAD_LU ; 16-byte Folded Reload
	v_fma_f64 v[100:101], v[158:159], v[44:45], v[114:115]
	v_fma_f64 v[102:103], v[158:159], v[46:47], -v[116:117]
	v_mul_f64_e32 v[44:45], s[6:7], v[98:99]
	v_mul_f64_e32 v[46:47], s[6:7], v[48:49]
	;; [unrolled: 1-line block ×3, first 2 shown]
	v_add_co_u32 v50, s0, v110, s2
	s_wait_alu 0xf1ff
	v_add_co_ci_u32_e64 v51, s0, s3, v111, s0
	s_delay_alu instid0(VALU_DEP_2) | instskip(SKIP_1) | instid1(VALU_DEP_2)
	v_add_co_u32 v70, s0, v50, s4
	s_wait_alu 0xf1ff
	v_add_co_ci_u32_e64 v71, s0, s5, v51, s0
	s_delay_alu instid0(VALU_DEP_2) | instskip(SKIP_1) | instid1(VALU_DEP_2)
	;; [unrolled: 4-line block ×4, first 2 shown]
	v_add_co_u32 v0, s0, v74, s2
	s_wait_alu 0xf1ff
	v_add_co_ci_u32_e64 v1, s0, s3, v75, s0
	s_wait_loadcnt_dscnt 0x0
	v_mul_f64_e32 v[118:119], v[162:163], v[56:57]
	v_mul_f64_e32 v[120:121], v[162:163], v[54:55]
	s_delay_alu instid0(VALU_DEP_2) | instskip(NEXT) | instid1(VALU_DEP_2)
	v_fma_f64 v[104:105], v[160:161], v[54:55], v[118:119]
	v_fma_f64 v[106:107], v[160:161], v[56:57], -v[120:121]
	v_mul_f64_e32 v[54:55], s[6:7], v[100:101]
	v_mul_f64_e32 v[56:57], s[6:7], v[102:103]
	s_delay_alu instid0(VALU_DEP_4) | instskip(NEXT) | instid1(VALU_DEP_4)
	v_mul_f64_e32 v[58:59], s[6:7], v[104:105]
	v_mul_f64_e32 v[60:61], s[6:7], v[106:107]
	s_clause 0x4
	global_store_b128 v[66:67], v[2:5], off
	global_store_b128 v[68:69], v[6:9], off
	;; [unrolled: 1-line block ×14, first 2 shown]
	s_and_b32 exec_lo, exec_lo, vcc_lo
	s_cbranch_execz .LBB0_31
; %bb.30:
	scratch_load_b64 v[16:17], off, off th:TH_LOAD_LU ; 8-byte Folded Reload
	s_wait_loadcnt 0x0
	global_load_b128 v[2:5], v[16:17], off offset:7616
	ds_load_b128 v[6:9], v53 offset:7616
	ds_load_b128 v[10:13], v53 offset:15776
	s_wait_loadcnt_dscnt 0x1
	v_mul_f64_e32 v[14:15], v[8:9], v[4:5]
	v_mul_f64_e32 v[4:5], v[6:7], v[4:5]
	s_delay_alu instid0(VALU_DEP_2) | instskip(NEXT) | instid1(VALU_DEP_2)
	v_fma_f64 v[6:7], v[6:7], v[2:3], v[14:15]
	v_fma_f64 v[4:5], v[2:3], v[8:9], -v[4:5]
	s_delay_alu instid0(VALU_DEP_2) | instskip(NEXT) | instid1(VALU_DEP_2)
	v_mul_f64_e32 v[2:3], s[6:7], v[6:7]
	v_mul_f64_e32 v[4:5], s[6:7], v[4:5]
	v_add_co_u32 v6, vcc_lo, v0, s4
	s_wait_alu 0xfffd
	v_add_co_ci_u32_e32 v7, vcc_lo, s5, v1, vcc_lo
	global_store_b128 v[6:7], v[2:5], off
	global_load_b128 v[0:3], v[16:17], off offset:15776
	s_wait_loadcnt_dscnt 0x0
	v_mul_f64_e32 v[4:5], v[12:13], v[2:3]
	v_mul_f64_e32 v[2:3], v[10:11], v[2:3]
	s_delay_alu instid0(VALU_DEP_2) | instskip(NEXT) | instid1(VALU_DEP_2)
	v_fma_f64 v[4:5], v[10:11], v[0:1], v[4:5]
	v_fma_f64 v[2:3], v[0:1], v[12:13], -v[2:3]
	s_delay_alu instid0(VALU_DEP_2) | instskip(NEXT) | instid1(VALU_DEP_2)
	v_mul_f64_e32 v[0:1], s[6:7], v[4:5]
	v_mul_f64_e32 v[2:3], s[6:7], v[2:3]
	v_add_co_u32 v4, vcc_lo, v6, s2
	s_wait_alu 0xfffd
	v_add_co_ci_u32_e32 v5, vcc_lo, s3, v7, vcc_lo
	global_store_b128 v[4:5], v[0:3], off
.LBB0_31:
	s_nop 0
	s_sendmsg sendmsg(MSG_DEALLOC_VGPRS)
	s_endpgm
	.section	.rodata,"a",@progbits
	.p2align	6, 0x0
	.amdhsa_kernel bluestein_single_fwd_len1020_dim1_dp_op_CI_CI
		.amdhsa_group_segment_fixed_size 48960
		.amdhsa_private_segment_fixed_size 1184
		.amdhsa_kernarg_size 104
		.amdhsa_user_sgpr_count 2
		.amdhsa_user_sgpr_dispatch_ptr 0
		.amdhsa_user_sgpr_queue_ptr 0
		.amdhsa_user_sgpr_kernarg_segment_ptr 1
		.amdhsa_user_sgpr_dispatch_id 0
		.amdhsa_user_sgpr_private_segment_size 0
		.amdhsa_wavefront_size32 1
		.amdhsa_uses_dynamic_stack 0
		.amdhsa_enable_private_segment 1
		.amdhsa_system_sgpr_workgroup_id_x 1
		.amdhsa_system_sgpr_workgroup_id_y 0
		.amdhsa_system_sgpr_workgroup_id_z 0
		.amdhsa_system_sgpr_workgroup_info 0
		.amdhsa_system_vgpr_workitem_id 0
		.amdhsa_next_free_vgpr 256
		.amdhsa_next_free_sgpr 62
		.amdhsa_reserve_vcc 1
		.amdhsa_float_round_mode_32 0
		.amdhsa_float_round_mode_16_64 0
		.amdhsa_float_denorm_mode_32 3
		.amdhsa_float_denorm_mode_16_64 3
		.amdhsa_fp16_overflow 0
		.amdhsa_workgroup_processor_mode 1
		.amdhsa_memory_ordered 1
		.amdhsa_forward_progress 0
		.amdhsa_round_robin_scheduling 0
		.amdhsa_exception_fp_ieee_invalid_op 0
		.amdhsa_exception_fp_denorm_src 0
		.amdhsa_exception_fp_ieee_div_zero 0
		.amdhsa_exception_fp_ieee_overflow 0
		.amdhsa_exception_fp_ieee_underflow 0
		.amdhsa_exception_fp_ieee_inexact 0
		.amdhsa_exception_int_div_zero 0
	.end_amdhsa_kernel
	.text
.Lfunc_end0:
	.size	bluestein_single_fwd_len1020_dim1_dp_op_CI_CI, .Lfunc_end0-bluestein_single_fwd_len1020_dim1_dp_op_CI_CI
                                        ; -- End function
	.section	.AMDGPU.csdata,"",@progbits
; Kernel info:
; codeLenInByte = 31784
; NumSgprs: 64
; NumVgprs: 256
; ScratchSize: 1184
; MemoryBound: 0
; FloatMode: 240
; IeeeMode: 1
; LDSByteSize: 48960 bytes/workgroup (compile time only)
; SGPRBlocks: 7
; VGPRBlocks: 31
; NumSGPRsForWavesPerEU: 64
; NumVGPRsForWavesPerEU: 256
; Occupancy: 4
; WaveLimiterHint : 1
; COMPUTE_PGM_RSRC2:SCRATCH_EN: 1
; COMPUTE_PGM_RSRC2:USER_SGPR: 2
; COMPUTE_PGM_RSRC2:TRAP_HANDLER: 0
; COMPUTE_PGM_RSRC2:TGID_X_EN: 1
; COMPUTE_PGM_RSRC2:TGID_Y_EN: 0
; COMPUTE_PGM_RSRC2:TGID_Z_EN: 0
; COMPUTE_PGM_RSRC2:TIDIG_COMP_CNT: 0
	.text
	.p2alignl 7, 3214868480
	.fill 96, 4, 3214868480
	.type	__hip_cuid_11a2a8c7ed079265,@object ; @__hip_cuid_11a2a8c7ed079265
	.section	.bss,"aw",@nobits
	.globl	__hip_cuid_11a2a8c7ed079265
__hip_cuid_11a2a8c7ed079265:
	.byte	0                               ; 0x0
	.size	__hip_cuid_11a2a8c7ed079265, 1

	.ident	"AMD clang version 19.0.0git (https://github.com/RadeonOpenCompute/llvm-project roc-6.4.0 25133 c7fe45cf4b819c5991fe208aaa96edf142730f1d)"
	.section	".note.GNU-stack","",@progbits
	.addrsig
	.addrsig_sym __hip_cuid_11a2a8c7ed079265
	.amdgpu_metadata
---
amdhsa.kernels:
  - .args:
      - .actual_access:  read_only
        .address_space:  global
        .offset:         0
        .size:           8
        .value_kind:     global_buffer
      - .actual_access:  read_only
        .address_space:  global
        .offset:         8
        .size:           8
        .value_kind:     global_buffer
      - .actual_access:  read_only
        .address_space:  global
        .offset:         16
        .size:           8
        .value_kind:     global_buffer
      - .actual_access:  read_only
        .address_space:  global
        .offset:         24
        .size:           8
        .value_kind:     global_buffer
      - .actual_access:  read_only
        .address_space:  global
        .offset:         32
        .size:           8
        .value_kind:     global_buffer
      - .offset:         40
        .size:           8
        .value_kind:     by_value
      - .address_space:  global
        .offset:         48
        .size:           8
        .value_kind:     global_buffer
      - .address_space:  global
        .offset:         56
        .size:           8
        .value_kind:     global_buffer
      - .address_space:  global
        .offset:         64
        .size:           8
        .value_kind:     global_buffer
      - .address_space:  global
        .offset:         72
        .size:           8
        .value_kind:     global_buffer
      - .offset:         80
        .size:           4
        .value_kind:     by_value
      - .address_space:  global
        .offset:         88
        .size:           8
        .value_kind:     global_buffer
      - .address_space:  global
        .offset:         96
        .size:           8
        .value_kind:     global_buffer
    .group_segment_fixed_size: 48960
    .kernarg_segment_align: 8
    .kernarg_segment_size: 104
    .language:       OpenCL C
    .language_version:
      - 2
      - 0
    .max_flat_workgroup_size: 204
    .name:           bluestein_single_fwd_len1020_dim1_dp_op_CI_CI
    .private_segment_fixed_size: 1184
    .sgpr_count:     64
    .sgpr_spill_count: 0
    .symbol:         bluestein_single_fwd_len1020_dim1_dp_op_CI_CI.kd
    .uniform_work_group_size: 1
    .uses_dynamic_stack: false
    .vgpr_count:     256
    .vgpr_spill_count: 417
    .wavefront_size: 32
    .workgroup_processor_mode: 1
amdhsa.target:   amdgcn-amd-amdhsa--gfx1201
amdhsa.version:
  - 1
  - 2
...

	.end_amdgpu_metadata
